;; amdgpu-corpus repo=ROCm/rocFFT kind=compiled arch=gfx1201 opt=O3
	.text
	.amdgcn_target "amdgcn-amd-amdhsa--gfx1201"
	.amdhsa_code_object_version 6
	.protected	bluestein_single_back_len3375_dim1_half_op_CI_CI ; -- Begin function bluestein_single_back_len3375_dim1_half_op_CI_CI
	.globl	bluestein_single_back_len3375_dim1_half_op_CI_CI
	.p2align	8
	.type	bluestein_single_back_len3375_dim1_half_op_CI_CI,@function
bluestein_single_back_len3375_dim1_half_op_CI_CI: ; @bluestein_single_back_len3375_dim1_half_op_CI_CI
; %bb.0:
	s_load_b128 s[12:15], s[0:1], 0x28
	v_mul_u32_u24_e32 v1, 0x124, v0
	s_mov_b32 s2, exec_lo
	v_mov_b32_e32 v25, 0
	s_delay_alu instid0(VALU_DEP_2) | instskip(NEXT) | instid1(VALU_DEP_1)
	v_lshrrev_b32_e32 v1, 16, v1
	v_add_nc_u32_e32 v24, ttmp9, v1
	s_wait_kmcnt 0x0
	s_delay_alu instid0(VALU_DEP_1)
	v_cmpx_gt_u64_e64 s[12:13], v[24:25]
	s_cbranch_execz .LBB0_2
; %bb.1:
	s_clause 0x1
	s_load_b128 s[8:11], s[0:1], 0x18
	s_load_b128 s[4:7], s[0:1], 0x0
	v_mul_lo_u16 v1, 0xe1, v1
	s_mov_b32 s12, 0xf3de0748
	s_mov_b32 s13, 0x3f33698d
	s_load_b64 s[0:1], s[0:1], 0x38
	s_delay_alu instid0(VALU_DEP_1) | instskip(NEXT) | instid1(VALU_DEP_1)
	v_sub_nc_u16 v47, v0, v1
	v_and_b32_e32 v81, 0xffff, v47
	s_delay_alu instid0(VALU_DEP_1)
	v_add_co_u32 v48, null, 0x1c2, v81
	v_lshlrev_b32_e32 v69, 2, v81
	s_wait_kmcnt 0x0
	s_load_b128 s[16:19], s[8:9], 0x0
	s_clause 0xe
	global_load_b32 v83, v69, s[4:5]
	global_load_b32 v79, v69, s[4:5] offset:900
	global_load_b32 v77, v69, s[4:5] offset:6300
	;; [unrolled: 1-line block ×14, first 2 shown]
	v_add_nc_u32_e32 v106, 0x700, v69
	v_add_nc_u32_e32 v104, 0x1c00, v69
	;; [unrolled: 1-line block ×7, first 2 shown]
	v_mul_u32_u24_e32 v20, 5, v48
	v_and_b32_e32 v26, 0xffff, v48
	v_add_nc_u32_e32 v96, 0xe00, v69
	s_wait_kmcnt 0x0
	v_mad_co_u64_u32 v[0:1], null, s18, v24, 0
	v_mad_co_u64_u32 v[2:3], null, s16, v81, 0
	s_mul_u64 s[2:3], s[16:17], 0xa8c
	s_mul_i32 s8, s17, 0xffffd954
	v_lshlrev_b32_e32 v57, 2, v20
	s_sub_co_i32 s8, s8, s16
	s_delay_alu instid0(VALU_DEP_2) | instskip(NEXT) | instid1(VALU_DEP_1)
	v_mad_co_u64_u32 v[4:5], null, s19, v24, v[1:2]
	v_mad_co_u64_u32 v[5:6], null, s17, v81, v[3:4]
	v_mov_b32_e32 v1, v4
	s_delay_alu instid0(VALU_DEP_1) | instskip(NEXT) | instid1(VALU_DEP_3)
	v_lshlrev_b64_e32 v[0:1], 2, v[0:1]
	v_mov_b32_e32 v3, v5
	s_delay_alu instid0(VALU_DEP_2) | instskip(NEXT) | instid1(VALU_DEP_2)
	v_add_co_u32 v0, vcc_lo, s14, v0
	v_lshlrev_b64_e32 v[2:3], 2, v[2:3]
	s_delay_alu instid0(VALU_DEP_4) | instskip(NEXT) | instid1(VALU_DEP_2)
	v_add_co_ci_u32_e32 v1, vcc_lo, s15, v1, vcc_lo
	v_add_co_u32 v0, vcc_lo, v0, v2
	s_wait_alu 0xfffd
	s_delay_alu instid0(VALU_DEP_2) | instskip(NEXT) | instid1(VALU_DEP_2)
	v_add_co_ci_u32_e32 v1, vcc_lo, v1, v3, vcc_lo
	v_add_co_u32 v2, vcc_lo, v0, s2
	s_wait_alu 0xfffd
	s_delay_alu instid0(VALU_DEP_2)
	v_add_co_ci_u32_e32 v3, vcc_lo, s3, v1, vcc_lo
	s_clause 0x1
	global_load_b32 v14, v[0:1], off
	global_load_b32 v13, v[2:3], off
	v_add_co_u32 v0, vcc_lo, v2, s2
	s_wait_alu 0xfffd
	v_add_co_ci_u32_e32 v1, vcc_lo, s3, v3, vcc_lo
	s_delay_alu instid0(VALU_DEP_2) | instskip(SKIP_1) | instid1(VALU_DEP_2)
	v_add_co_u32 v2, vcc_lo, v0, s2
	s_wait_alu 0xfffd
	v_add_co_ci_u32_e32 v3, vcc_lo, s3, v1, vcc_lo
	global_load_b32 v10, v[0:1], off
	v_add_co_u32 v4, vcc_lo, v2, s2
	s_wait_alu 0xfffd
	v_add_co_ci_u32_e32 v5, vcc_lo, s3, v3, vcc_lo
	s_clause 0x1
	global_load_b32 v11, v[2:3], off
	global_load_b32 v12, v[4:5], off
	v_mad_co_u64_u32 v[0:1], null, 0xffffd954, s16, v[4:5]
	s_delay_alu instid0(VALU_DEP_1) | instskip(NEXT) | instid1(VALU_DEP_2)
	v_add_nc_u32_e32 v1, s8, v1
	v_add_co_u32 v2, vcc_lo, v0, s2
	s_wait_alu 0xfffd
	s_delay_alu instid0(VALU_DEP_2)
	v_add_co_ci_u32_e32 v3, vcc_lo, s3, v1, vcc_lo
	global_load_b32 v9, v[0:1], off
	v_add_co_u32 v0, vcc_lo, v2, s2
	s_wait_alu 0xfffd
	v_add_co_ci_u32_e32 v1, vcc_lo, s3, v3, vcc_lo
	global_load_b32 v8, v[2:3], off
	v_add_co_u32 v2, vcc_lo, v0, s2
	s_wait_alu 0xfffd
	;; [unrolled: 4-line block ×3, first 2 shown]
	v_add_co_ci_u32_e32 v5, vcc_lo, s3, v3, vcc_lo
	s_delay_alu instid0(VALU_DEP_1)
	v_mad_co_u64_u32 v[0:1], null, 0xffffd954, s16, v[4:5]
	global_load_b32 v6, v[2:3], off
	global_load_b32 v5, v[4:5], off
	v_add_nc_u32_e32 v1, s8, v1
	v_add_co_u32 v2, vcc_lo, v0, s2
	s_wait_alu 0xfffd
	s_delay_alu instid0(VALU_DEP_2)
	v_add_co_ci_u32_e32 v3, vcc_lo, s3, v1, vcc_lo
	global_load_b32 v4, v[0:1], off
	v_add_co_u32 v0, vcc_lo, v2, s2
	s_wait_alu 0xfffd
	v_add_co_ci_u32_e32 v1, vcc_lo, s3, v3, vcc_lo
	global_load_b32 v3, v[2:3], off
	v_add_co_u32 v15, vcc_lo, v0, s2
	s_wait_alu 0xfffd
	;; [unrolled: 4-line block ×3, first 2 shown]
	v_add_co_ci_u32_e32 v18, vcc_lo, s3, v16, vcc_lo
	global_load_b32 v2, v[15:16], off
	global_load_b32 v1, v[17:18], off
	v_add_co_u32 v49, s2, 0xe1, v81
	v_mul_u32_u24_e32 v17, 0xcccd, v26
	s_load_b128 s[8:11], s[10:11], 0x0
	v_mul_lo_u16 v15, v47, 5
	s_delay_alu instid0(VALU_DEP_3)
	v_and_b32_e32 v27, 0xffff, v49
	v_cmp_gt_u16_e32 vcc_lo, 0x7d, v47
	v_lshrrev_b32_e32 v29, 18, v17
	v_and_b32_e32 v25, 0xff, v47
	v_and_b32_e32 v15, 0xffff, v15
	v_mul_u32_u24_e32 v18, 0xcccd, v27
	v_add_co_ci_u32_e64 v33, null, 0, 0, s2
	s_delay_alu instid0(VALU_DEP_4) | instskip(NEXT) | instid1(VALU_DEP_4)
	v_mul_lo_u16 v16, 0xcd, v25
	v_lshlrev_b32_e32 v56, 2, v15
	s_delay_alu instid0(VALU_DEP_4) | instskip(SKIP_1) | instid1(VALU_DEP_4)
	v_lshrrev_b32_e32 v30, 18, v18
	v_mul_lo_u16 v18, v29, 5
	v_lshrrev_b16 v28, 10, v16
	v_mul_u32_u24_e32 v16, 5, v49
	s_delay_alu instid0(VALU_DEP_4) | instskip(NEXT) | instid1(VALU_DEP_4)
	v_mul_lo_u16 v19, v30, 5
	v_sub_nc_u16 v31, v48, v18
	s_delay_alu instid0(VALU_DEP_4) | instskip(NEXT) | instid1(VALU_DEP_4)
	v_mul_lo_u16 v17, v28, 5
	v_lshlrev_b32_e32 v55, 2, v16
	s_delay_alu instid0(VALU_DEP_4) | instskip(NEXT) | instid1(VALU_DEP_3)
	v_sub_nc_u16 v32, v49, v19
	v_sub_nc_u16 v17, v47, v17
	s_wait_loadcnt 0x18
	v_lshrrev_b32_e32 v95, 16, v78
	v_lshrrev_b32_e32 v103, 16, v83
	s_wait_loadcnt 0x17
	v_lshrrev_b32_e32 v102, 16, v85
	v_lshrrev_b32_e32 v101, 16, v84
	;; [unrolled: 3-line block ×3, first 2 shown]
	v_lshrrev_b32_e32 v97, 16, v79
	v_lshrrev_b32_e32 v94, 16, v77
	;; [unrolled: 1-line block ×6, first 2 shown]
	s_wait_loadcnt 0xf
	v_lshrrev_b32_e32 v88, 16, v72
	v_lshrrev_b32_e32 v87, 16, v71
	;; [unrolled: 1-line block ×3, first 2 shown]
	s_wait_loadcnt 0xe
	v_lshrrev_b32_e32 v18, 16, v14
	v_mul_f16_e32 v19, v103, v14
	s_wait_loadcnt 0xd
	v_lshrrev_b32_e32 v22, 16, v13
	v_mul_f16_e32 v23, v102, v13
	v_mul_f16_e32 v21, v103, v18
	v_fma_f16 v18, v83, v18, -v19
	s_delay_alu instid0(VALU_DEP_2)
	v_fmac_f16_e32 v21, v83, v14
	v_mul_f16_e32 v14, v102, v22
	v_fma_f16 v22, v85, v22, -v23
	s_wait_loadcnt 0xc
	v_lshrrev_b32_e32 v19, 16, v10
	v_mul_f16_e32 v23, v101, v10
	v_pack_b32_f16 v18, v21, v18
	v_fmac_f16_e32 v14, v85, v13
	s_delay_alu instid0(VALU_DEP_4)
	v_mul_f16_e32 v13, v101, v19
	s_wait_loadcnt 0xb
	v_lshrrev_b32_e32 v21, 16, v11
	v_fma_f16 v19, v84, v19, -v23
	s_wait_loadcnt 0xa
	v_lshrrev_b32_e32 v23, 16, v12
	v_mul_f16_e32 v34, v100, v11
	v_pack_b32_f16 v14, v14, v22
	v_mul_f16_e32 v22, v100, v21
	v_mul_f16_e32 v35, v98, v12
	;; [unrolled: 1-line block ×3, first 2 shown]
	v_fmac_f16_e32 v13, v84, v10
	v_fma_f16 v10, v82, v21, -v34
	v_fmac_f16_e32 v22, v82, v11
	v_fma_f16 v11, v80, v23, -v35
	v_fmac_f16_e32 v36, v80, v12
	v_pack_b32_f16 v13, v13, v19
	v_and_b32_e32 v34, 0xff, v17
	v_pack_b32_f16 v10, v22, v10
	s_wait_loadcnt 0x9
	v_lshrrev_b32_e32 v12, 16, v9
	v_mul_f16_e32 v19, v97, v9
	v_pack_b32_f16 v11, v36, v11
	ds_store_b32 v69, v14 offset:2700
	ds_store_b32 v69, v13 offset:5400
	;; [unrolled: 1-line block ×4, first 2 shown]
	v_mul_f16_e32 v21, v97, v12
	s_wait_loadcnt 0x8
	v_lshrrev_b32_e32 v22, 16, v8
	v_fma_f16 v12, v79, v12, -v19
	v_mul_f16_e32 v19, v95, v8
	v_lshlrev_b32_e32 v20, 4, v34
	v_fmac_f16_e32 v21, v79, v9
	v_mul_f16_e32 v9, v95, v22
	s_wait_loadcnt 0x7
	v_lshrrev_b32_e32 v10, 16, v7
	v_mul_f16_e32 v11, v94, v7
	v_fma_f16 v13, v78, v22, -v19
	v_pack_b32_f16 v12, v21, v12
	v_fmac_f16_e32 v9, v78, v8
	v_mul_f16_e32 v8, v94, v10
	v_fma_f16 v10, v77, v10, -v11
	s_wait_loadcnt 0x6
	v_lshrrev_b32_e32 v11, 16, v6
	v_mul_f16_e32 v14, v92, v6
	ds_store_2addr_b32 v69, v18, v12 offset1:225
	v_pack_b32_f16 v9, v9, v13
	s_wait_loadcnt 0x5
	v_lshrrev_b32_e32 v12, 16, v5
	v_mul_f16_e32 v13, v92, v11
	v_fmac_f16_e32 v8, v77, v7
	v_fma_f16 v11, v76, v11, -v14
	v_mul_f16_e32 v7, v91, v5
	v_mul_f16_e32 v14, v91, v12
	v_fmac_f16_e32 v13, v76, v6
	v_pack_b32_f16 v6, v8, v10
	s_delay_alu instid0(VALU_DEP_4)
	v_fma_f16 v7, v75, v12, -v7
	s_wait_loadcnt 0x4
	v_lshrrev_b32_e32 v8, 16, v4
	v_fmac_f16_e32 v14, v75, v5
	v_pack_b32_f16 v5, v13, v11
	v_mul_f16_e32 v10, v90, v4
	s_wait_loadcnt 0x3
	v_lshrrev_b32_e32 v11, 16, v3
	v_mul_f16_e32 v12, v90, v8
	v_mul_f16_e32 v13, v89, v3
	v_fma_f16 v8, v74, v8, -v10
	v_pack_b32_f16 v7, v14, v7
	v_mul_f16_e32 v10, v89, v11
	v_fmac_f16_e32 v12, v74, v4
	s_wait_loadcnt 0x2
	v_lshrrev_b32_e32 v4, 16, v0
	v_fma_f16 v11, v73, v11, -v13
	v_mul_f16_e32 v13, v88, v0
	v_fmac_f16_e32 v10, v73, v3
	s_wait_loadcnt 0x1
	v_lshrrev_b32_e32 v3, 16, v2
	s_wait_loadcnt 0x0
	v_lshrrev_b32_e32 v18, 16, v1
	v_mul_f16_e32 v14, v88, v4
	v_fma_f16 v4, v72, v4, -v13
	v_mul_f16_e32 v13, v87, v2
	v_mul_f16_e32 v19, v87, v3
	;; [unrolled: 1-line block ×4, first 2 shown]
	v_fmac_f16_e32 v14, v72, v0
	v_fma_f16 v0, v71, v3, -v13
	v_fmac_f16_e32 v19, v71, v2
	v_fma_f16 v2, v70, v18, -v21
	v_fmac_f16_e32 v22, v70, v1
	v_pack_b32_f16 v1, v12, v8
	v_pack_b32_f16 v3, v10, v11
	v_lshlrev_b16 v10, 2, v31
	v_pack_b32_f16 v4, v14, v4
	v_pack_b32_f16 v0, v19, v0
	;; [unrolled: 1-line block ×3, first 2 shown]
	ds_store_b32 v69, v1 offset:1800
	ds_store_2addr_b32 v96, v9, v3 offset0:4 offset1:229
	ds_store_2addr_b32 v58, v6, v4 offset0:7 offset1:232
	;; [unrolled: 1-line block ×4, first 2 shown]
	global_wb scope:SCOPE_SE
	s_wait_dscnt 0x0
	s_wait_kmcnt 0x0
	s_barrier_signal -1
	s_barrier_wait -1
	global_inv scope:SCOPE_SE
	ds_load_2addr_b32 v[0:1], v69 offset1:225
	ds_load_2addr_b32 v[2:3], v96 offset0:4 offset1:229
	ds_load_2addr_b32 v[4:5], v105 offset0:6 offset1:231
	;; [unrolled: 1-line block ×4, first 2 shown]
	v_and_b32_e32 v15, 0xffff, v10
	ds_load_2addr_b32 v[10:11], v106 offset0:2 offset1:227
	ds_load_2addr_b32 v[12:13], v104 offset0:8 offset1:233
	ds_load_b32 v16, v69 offset:12600
	v_lshlrev_b16 v14, 2, v32
	v_lshlrev_b32_e32 v15, 2, v15
	global_wb scope:SCOPE_SE
	s_wait_dscnt 0x0
	s_barrier_signal -1
	s_barrier_wait -1
	v_and_b32_e32 v14, 0xffff, v14
	global_inv scope:SCOPE_SE
	v_pk_add_f16 v17, v1, v2
	v_pk_add_f16 v22, v2, v5 neg_lo:[0,1] neg_hi:[0,1]
	v_pk_add_f16 v18, v5, v6
	v_pk_add_f16 v19, v2, v9 neg_lo:[0,1] neg_hi:[0,1]
	v_pk_add_f16 v21, v5, v6 neg_lo:[0,1] neg_hi:[0,1]
	;; [unrolled: 1-line block ×3, first 2 shown]
	v_pk_add_f16 v35, v2, v9
	v_pk_add_f16 v2, v5, v2 neg_lo:[0,1] neg_hi:[0,1]
	v_pk_add_f16 v36, v6, v9 neg_lo:[0,1] neg_hi:[0,1]
	v_pk_add_f16 v37, v10, v3
	v_pk_add_f16 v38, v0, v11
	;; [unrolled: 1-line block ×3, first 2 shown]
	v_pk_add_f16 v40, v11, v8 neg_lo:[0,1] neg_hi:[0,1]
	v_pk_add_f16 v41, v4, v13 neg_lo:[0,1] neg_hi:[0,1]
	v_pk_add_f16 v44, v11, v8
	v_pk_add_f16 v42, v11, v4 neg_lo:[0,1] neg_hi:[0,1]
	v_pk_add_f16 v43, v8, v13 neg_lo:[0,1] neg_hi:[0,1]
	;; [unrolled: 1-line block ×4, first 2 shown]
	v_pk_add_f16 v46, v12, v7
	v_pk_add_f16 v50, v3, v16 neg_lo:[0,1] neg_hi:[0,1]
	v_pk_add_f16 v51, v12, v7 neg_lo:[0,1] neg_hi:[0,1]
	;; [unrolled: 1-line block ×3, first 2 shown]
	v_pk_add_f16 v53, v3, v16
	v_pk_add_f16 v3, v12, v3 neg_lo:[0,1] neg_hi:[0,1]
	v_pk_add_f16 v5, v17, v5
	v_pk_add_f16 v4, v38, v4
	v_pk_fma_f16 v17, v18, 0.5, v1 op_sel_hi:[1,0,1] neg_lo:[1,0,0] neg_hi:[1,0,0]
	v_pk_mul_f16 v18, 0x3b9c, v19 op_sel_hi:[0,1]
	v_pk_add_f16 v22, v22, v23
	v_pk_mul_f16 v23, 0x38b4, v21 op_sel_hi:[0,1]
	v_pk_fma_f16 v1, v35, 0.5, v1 op_sel_hi:[1,0,1] neg_lo:[1,0,0] neg_hi:[1,0,0]
	v_pk_add_f16 v2, v2, v36
	v_pk_mul_f16 v21, 0x3b9c, v21 op_sel_hi:[0,1]
	v_pk_add_f16 v12, v37, v12
	v_pk_fma_f16 v35, v39, 0.5, v0 op_sel_hi:[1,0,1] neg_lo:[1,0,0] neg_hi:[1,0,0]
	v_pk_mul_f16 v36, 0x3b9c, v40 op_sel_hi:[0,1]
	v_pk_fma_f16 v0, v44, 0.5, v0 op_sel_hi:[1,0,1] neg_lo:[1,0,0] neg_hi:[1,0,0]
	v_pk_mul_f16 v39, 0x3b9c, v41 op_sel_hi:[0,1]
	v_pk_add_f16 v54, v16, v7 neg_lo:[0,1] neg_hi:[0,1]
	v_pk_add_f16 v60, v7, v16 neg_lo:[0,1] neg_hi:[0,1]
	v_pk_mul_f16 v19, 0x38b4, v19 op_sel_hi:[0,1]
	v_pk_add_f16 v37, v42, v43
	v_pk_mul_f16 v38, 0x38b4, v41 op_sel_hi:[0,1]
	v_pk_add_f16 v11, v11, v45
	v_pk_fma_f16 v41, v46, 0.5, v10 op_sel_hi:[1,0,1] neg_lo:[1,0,0] neg_hi:[1,0,0]
	v_pk_mul_f16 v42, 0x3b9c, v50 op_sel_hi:[0,1]
	v_pk_fma_f16 v10, v53, 0.5, v10 op_sel_hi:[1,0,1] neg_lo:[1,0,0] neg_hi:[1,0,0]
	v_pk_mul_f16 v45, 0x3b9c, v51 op_sel_hi:[0,1]
	v_pk_add_f16 v5, v5, v6
	v_pk_add_f16 v6, v17, v18 op_sel:[0,1] op_sel_hi:[1,0]
	v_pk_add_f16 v17, v17, v18 op_sel:[0,1] op_sel_hi:[1,0] neg_lo:[0,1] neg_hi:[0,1]
	v_pk_add_f16 v18, v1, v21 op_sel:[0,1] op_sel_hi:[1,0] neg_lo:[0,1] neg_hi:[0,1]
	v_pk_add_f16 v1, v1, v21 op_sel:[0,1] op_sel_hi:[1,0]
	v_pk_add_f16 v7, v12, v7
	v_pk_add_f16 v4, v4, v13
	v_pk_add_f16 v12, v35, v36 op_sel:[0,1] op_sel_hi:[1,0]
	v_pk_add_f16 v13, v35, v36 op_sel:[0,1] op_sel_hi:[1,0] neg_lo:[0,1] neg_hi:[0,1]
	v_pk_mul_f16 v40, 0x38b4, v40 op_sel_hi:[0,1]
	v_pk_add_f16 v21, v0, v39 op_sel:[0,1] op_sel_hi:[1,0] neg_lo:[0,1] neg_hi:[0,1]
	v_pk_add_f16 v0, v0, v39 op_sel:[0,1] op_sel_hi:[1,0]
	v_pk_mul_f16 v43, 0x38b4, v51 op_sel_hi:[0,1]
	v_pk_mul_f16 v46, 0x38b4, v50 op_sel_hi:[0,1]
	v_pk_add_f16 v35, v41, v42 op_sel:[0,1] op_sel_hi:[1,0]
	v_pk_add_f16 v36, v41, v42 op_sel:[0,1] op_sel_hi:[1,0] neg_lo:[0,1] neg_hi:[0,1]
	v_pk_add_f16 v39, v10, v45 op_sel:[0,1] op_sel_hi:[1,0] neg_lo:[0,1] neg_hi:[0,1]
	v_pk_add_f16 v10, v10, v45 op_sel:[0,1] op_sel_hi:[1,0]
	v_pk_add_f16 v5, v5, v9
	v_pk_add_f16 v6, v6, v23 op_sel:[0,1] op_sel_hi:[1,0]
	v_pk_add_f16 v9, v17, v23 op_sel:[0,1] op_sel_hi:[1,0] neg_lo:[0,1] neg_hi:[0,1]
	v_pk_add_f16 v17, v18, v19 op_sel:[0,1] op_sel_hi:[1,0]
	v_pk_add_f16 v1, v1, v19 op_sel:[0,1] op_sel_hi:[1,0] neg_lo:[0,1] neg_hi:[0,1]
	v_pk_add_f16 v4, v4, v8
	v_pk_add_f16 v8, v12, v38 op_sel:[0,1] op_sel_hi:[1,0]
	v_pk_add_f16 v12, v13, v38 op_sel:[0,1] op_sel_hi:[1,0] neg_lo:[0,1] neg_hi:[0,1]
	v_pk_add_f16 v13, v21, v40 op_sel:[0,1] op_sel_hi:[1,0]
	v_pk_add_f16 v0, v0, v40 op_sel:[0,1] op_sel_hi:[1,0] neg_lo:[0,1] neg_hi:[0,1]
	;; [unrolled: 5-line block ×3, first 2 shown]
	v_bfi_b32 v21, 0xffff, v6, v9
	v_bfi_b32 v23, 0xffff, v17, v1
	;; [unrolled: 1-line block ×8, first 2 shown]
	v_pk_add_f16 v44, v52, v54
	v_pk_add_f16 v3, v3, v60
	v_bfi_b32 v12, 0xffff, v16, v18
	v_bfi_b32 v13, 0xffff, v19, v10
	v_bfi_b32 v10, 0xffff, v10, v19
	v_bfi_b32 v16, 0xffff, v18, v16
	v_pk_fma_f16 v19, 0x34f2, v2, v23 op_sel_hi:[0,1,1]
	v_pk_fma_f16 v1, 0x34f2, v2, v1 op_sel_hi:[0,1,1]
	;; [unrolled: 1-line block ×12, first 2 shown]
	ds_store_2addr_b32 v56, v4, v6 offset1:1
	ds_store_2addr_b32 v56, v9, v0 offset0:2 offset1:3
	ds_store_b32 v56, v8 offset:16
	ds_store_2addr_b32 v55, v5, v18 offset1:1
	ds_store_2addr_b32 v55, v19, v1 offset0:2 offset1:3
	ds_store_b32 v55, v2 offset:16
	;; [unrolled: 3-line block ×3, first 2 shown]
	v_lshlrev_b32_e32 v0, 2, v14
	global_wb scope:SCOPE_SE
	s_wait_dscnt 0x0
	s_barrier_signal -1
	s_barrier_wait -1
	global_inv scope:SCOPE_SE
	s_clause 0x2
	global_load_b128 v[16:19], v15, s[6:7]
	global_load_b128 v[12:15], v20, s[6:7]
	;; [unrolled: 1-line block ×3, first 2 shown]
	v_mul_u32_u24_e32 v0, 0x47af, v26
	v_mul_u32_u24_e32 v1, 0x47af, v27
	v_mul_lo_u16 v2, v25, 41
	v_mul_u32_u24_e32 v27, 0x625, v27
	v_mul_u32_u24_e32 v26, 0x625, v26
	v_lshrrev_b32_e32 v0, 16, v0
	v_lshrrev_b32_e32 v1, 16, v1
	v_lshrrev_b16 v25, 10, v2
	v_lshrrev_b32_e32 v27, 16, v27
	s_delay_alu instid0(VALU_DEP_4) | instskip(NEXT) | instid1(VALU_DEP_4)
	v_sub_nc_u16 v3, v48, v0
	v_sub_nc_u16 v4, v49, v1
	s_delay_alu instid0(VALU_DEP_2) | instskip(NEXT) | instid1(VALU_DEP_2)
	v_lshrrev_b16 v2, 1, v3
	v_lshrrev_b16 v3, 1, v4
	v_mul_lo_u16 v4, v25, 25
	s_delay_alu instid0(VALU_DEP_3) | instskip(NEXT) | instid1(VALU_DEP_3)
	v_add_nc_u16 v0, v2, v0
	v_add_nc_u16 v1, v3, v1
	v_and_b32_e32 v2, 0xffff, v28
	s_delay_alu instid0(VALU_DEP_4) | instskip(NEXT) | instid1(VALU_DEP_4)
	v_sub_nc_u16 v3, v47, v4
	v_lshrrev_b16 v36, 4, v0
	s_delay_alu instid0(VALU_DEP_4) | instskip(NEXT) | instid1(VALU_DEP_4)
	v_lshrrev_b16 v37, 4, v1
	v_mul_u32_u24_e32 v0, 25, v2
	s_delay_alu instid0(VALU_DEP_4)
	v_and_b32_e32 v38, 0xff, v3
	v_mad_u16 v3, v29, 25, v31
	v_mul_lo_u16 v1, v36, 25
	v_mul_lo_u16 v2, v37, 25
	v_add_lshl_u32 v140, v0, v34, 2
	v_mad_u16 v0, v30, 25, v32
	v_and_b32_e32 v9, 0xffff, v3
	v_sub_nc_u16 v32, v48, v1
	v_sub_nc_u16 v39, v49, v2
	v_lshlrev_b32_e32 v34, 4, v38
	v_and_b32_e32 v8, 0xffff, v0
	ds_load_2addr_b32 v[0:1], v106 offset0:2 offset1:227
	ds_load_2addr_b32 v[2:3], v96 offset0:4 offset1:229
	;; [unrolled: 1-line block ×4, first 2 shown]
	ds_load_b32 v35, v69 offset:12600
	v_lshlrev_b16 v10, 4, v32
	v_lshlrev_b16 v11, 4, v39
	v_lshlrev_b32_e32 v141, 2, v9
	v_lshlrev_b32_e32 v142, 2, v8
	ds_load_2addr_b32 v[8:9], v105 offset0:6 offset1:231
	v_and_b32_e32 v30, 0xffff, v10
	v_and_b32_e32 v40, 0xffff, v11
	ds_load_2addr_b32 v[10:11], v99 offset0:12 offset1:237
	ds_load_2addr_b32 v[28:29], v69 offset1:225
	global_wb scope:SCOPE_SE
	s_wait_loadcnt_dscnt 0x0
	s_barrier_signal -1
	v_add_co_u32 v30, s2, s6, v30
	s_wait_alu 0xf1ff
	v_add_co_ci_u32_e64 v31, null, s7, 0, s2
	s_barrier_wait -1
	v_lshrrev_b32_e32 v46, 16, v1
	v_lshrrev_b32_e32 v42, 16, v3
	;; [unrolled: 1-line block ×15, first 2 shown]
	global_inv scope:SCOPE_SE
	v_lshrrev_b32_e32 v169, 16, v16
	v_lshrrev_b32_e32 v165, 16, v17
	;; [unrolled: 1-line block ×12, first 2 shown]
	v_mul_f16_e64 v64, v42, v169
	v_mul_f16_e64 v65, v3, v169
	;; [unrolled: 1-line block ×24, first 2 shown]
	v_fma_f16 v3, v3, v16, -v64
	v_fmac_f16_e32 v65, v42, v16
	v_fma_f16 v4, v4, v17, -v66
	v_fmac_f16_e32 v67, v43, v17
	v_fma_f16 v7, v7, v18, -v68
	v_fma_f16 v35, v35, v19, -v108
	v_fmac_f16_e32 v107, v44, v18
	v_fmac_f16_e32 v109, v45, v19
	v_fma_f16 v1, v1, v12, -v110
	v_fma_f16 v5, v5, v14, -v112
	;; [unrolled: 1-line block ×7, first 2 shown]
	v_fmac_f16_e32 v111, v46, v12
	v_fmac_f16_e32 v118, v52, v13
	;; [unrolled: 1-line block ×5, first 2 shown]
	v_fma_f16 v10, v10, v15, -v122
	v_fmac_f16_e32 v124, v60, v15
	v_fmac_f16_e32 v115, v51, v20
	;; [unrolled: 1-line block ×3, first 2 shown]
	v_add_f16_e32 v43, v4, v7
	v_add_f16_e32 v44, v3, v35
	v_sub_f16_e32 v45, v4, v3
	v_sub_f16_e32 v46, v7, v35
	v_add_f16_e32 v51, v67, v107
	v_add_f16_e32 v52, v65, v109
	v_sub_f16_e32 v53, v67, v65
	v_sub_f16_e32 v54, v107, v109
	v_add_f16_e32 v68, v9, v6
	v_sub_f16_e32 v112, v9, v2
	v_sub_f16_e32 v114, v6, v11
	v_add_f16_e32 v116, v119, v121
	v_add_f16_e64 v130, v8, v5
	v_add_f16_e64 v132, v28, v1
	;; [unrolled: 1-line block ×5, first 2 shown]
	v_sub_f16_e64 v135, v111, v118
	v_sub_f16_e64 v139, v111, v124
	;; [unrolled: 1-line block ×3, first 2 shown]
	v_add_f16_e32 v111, v111, v124
	v_add_f16_e32 v110, v29, v2
	;; [unrolled: 1-line block ×7, first 2 shown]
	v_sub_f16_e64 v133, v1, v8
	v_sub_f16_e64 v144, v1, v10
	v_sub_f16_e64 v145, v8, v5
	v_sub_f16_e32 v1, v8, v1
	v_fma_f16 v43, -0.5, v43, v0
	v_fmac_f16_e32 v0, -0.5, v44
	v_add_f16_e32 v44, v45, v46
	v_fma_f16 v45, -0.5, v51, v41
	v_fmac_f16_e32 v41, -0.5, v52
	v_add_f16_e32 v46, v53, v54
	v_fma_f16 v51, -0.5, v68, v29
	v_add_f16_e32 v52, v112, v114
	v_fma_f16 v53, -0.5, v116, v62
	v_fma_f16 v68, -0.5, v130, v28
	v_add_f16_e64 v8, v132, v8
	v_add_f16_e64 v114, v137, v118
	v_fma_f16 v116, -0.5, v138, v63
	v_sub_f16_e64 v143, v118, v113
	v_fma_f16 v28, -0.5, v131, v28
	v_fmac_f16_e32 v63, -0.5, v111
	v_sub_f16_e32 v127, v9, v6
	v_sub_f16_e64 v128, v115, v125
	v_sub_f16_e64 v129, v2, v11
	v_sub_f16_e32 v2, v2, v9
	v_add_f16_e32 v9, v110, v9
	v_add_f16_e32 v110, v120, v119
	v_sub_f16_e32 v126, v119, v121
	v_fmac_f16_e32 v29, -0.5, v108
	v_fmac_f16_e32 v62, -0.5, v117
	v_sub_f16_e32 v60, v67, v107
	v_sub_f16_e32 v61, v4, v7
	;; [unrolled: 1-line block ×4, first 2 shown]
	v_sub_f16_e64 v134, v10, v5
	v_sub_f16_e64 v136, v124, v113
	;; [unrolled: 1-line block ×4, first 2 shown]
	v_sub_f16_e32 v3, v3, v4
	v_sub_f16_e32 v65, v65, v67
	v_sub_f16_e64 v152, v109, v107
	v_add_f16_e32 v4, v42, v4
	v_add_f16_e32 v42, v50, v67
	;; [unrolled: 1-line block ×4, first 2 shown]
	v_fma_f16 v113, 0x3b9c, v139, v68
	v_fma_f16 v114, 0xbb9c, v144, v116
	v_sub_f16_e32 v122, v119, v115
	v_sub_f16_e32 v115, v115, v119
	v_fma_f16 v119, 0xbb9c, v143, v28
	v_fmac_f16_e64 v28, 0x3b9c, v143
	v_fma_f16 v120, 0x3b9c, v145, v63
	v_fmac_f16_e64 v63, 0xbb9c, v145
	v_fmac_f16_e64 v68, 0xbb9c, v139
	;; [unrolled: 1-line block ×3, first 2 shown]
	v_sub_f16_e32 v123, v121, v125
	v_sub_f16_e64 v149, v11, v6
	v_sub_f16_e64 v150, v125, v121
	v_add_f16_e32 v6, v9, v6
	v_add_f16_e32 v9, v110, v121
	v_fma_f16 v110, 0x3b9c, v128, v51
	v_fma_f16 v121, 0xbb9c, v129, v53
	v_fmamk_f16 v117, v126, 0xbb9c, v29
	v_fmac_f16_e32 v29, 0x3b9c, v126
	v_fmamk_f16 v118, v127, 0x3b9c, v62
	v_fmac_f16_e32 v62, 0xbb9c, v127
	v_sub_f16_e64 v151, v35, v7
	v_add_f16_e64 v108, v133, v134
	v_add_f16_e64 v112, v135, v136
	;; [unrolled: 1-line block ×3, first 2 shown]
	v_fmamk_f16 v65, v60, 0xbb9c, v0
	v_fmac_f16_e32 v0, 0x3b9c, v60
	v_fmamk_f16 v67, v61, 0x3b9c, v41
	v_fmac_f16_e32 v41, 0xbb9c, v61
	v_add_f16_e32 v4, v4, v7
	v_add_f16_e32 v7, v42, v107
	v_fmac_f16_e64 v51, 0xbb9c, v128
	v_fmac_f16_e64 v53, 0x3b9c, v129
	v_fmamk_f16 v42, v64, 0x3b9c, v43
	v_fmac_f16_e32 v43, 0xbb9c, v64
	v_fmamk_f16 v107, v66, 0xbb9c, v45
	v_fmac_f16_e32 v45, 0x3b9c, v66
	v_fmac_f16_e64 v113, 0x38b4, v143
	v_fmac_f16_e64 v114, 0xb8b4, v145
	v_add_f16_e64 v1, v1, v146
	v_add_f16_e64 v111, v147, v148
	v_fmac_f16_e64 v119, 0x38b4, v139
	v_fmac_f16_e64 v28, 0xb8b4, v139
	;; [unrolled: 1-line block ×6, first 2 shown]
	v_add_f16_e64 v2, v2, v149
	v_add_f16_e64 v115, v115, v150
	v_fmac_f16_e32 v110, 0x38b4, v126
	v_fmac_f16_e32 v121, 0xb8b4, v127
	v_add_f16_e32 v54, v122, v123
	v_fmac_f16_e64 v29, 0xb8b4, v128
	v_fmac_f16_e64 v62, 0x38b4, v129
	;; [unrolled: 1-line block ×4, first 2 shown]
	v_add_f16_e64 v3, v3, v151
	v_fmac_f16_e32 v0, 0xb8b4, v64
	v_fmac_f16_e32 v41, 0x38b4, v66
	v_add_f16_e32 v5, v5, v10
	v_add_f16_e32 v8, v8, v124
	v_fmac_f16_e32 v51, 0xb8b4, v126
	v_fmac_f16_e32 v53, 0x38b4, v127
	v_add_f16_e32 v4, v4, v35
	v_fmac_f16_e32 v42, 0x38b4, v60
	v_fmac_f16_e32 v43, 0xb8b4, v60
	;; [unrolled: 1-line block ×3, first 2 shown]
	v_add_f16_e32 v7, v7, v109
	v_fmac_f16_e32 v107, 0xb8b4, v61
	v_fmac_f16_e32 v45, 0x38b4, v61
	;; [unrolled: 1-line block ×5, first 2 shown]
	v_add_f16_e32 v6, v6, v11
	v_add_f16_e32 v9, v9, v125
	v_fmac_f16_e32 v119, 0x34f2, v1
	v_fmac_f16_e32 v28, 0x34f2, v1
	;; [unrolled: 1-line block ×14, first 2 shown]
	v_pack_b32_f16 v5, v5, v8
	v_fmac_f16_e32 v51, 0x34f2, v2
	v_fmac_f16_e32 v53, 0x34f2, v115
	;; [unrolled: 1-line block ×8, first 2 shown]
	v_pack_b32_f16 v2, v4, v7
	v_pack_b32_f16 v4, v113, v114
	v_pack_b32_f16 v1, v6, v9
	v_pack_b32_f16 v6, v119, v120
	v_pack_b32_f16 v7, v28, v63
	v_pack_b32_f16 v8, v68, v116
	v_pack_b32_f16 v9, v110, v121
	v_pack_b32_f16 v3, v29, v62
	v_pack_b32_f16 v10, v117, v118
	v_pack_b32_f16 v0, v0, v41
	v_pack_b32_f16 v11, v51, v53
	v_pack_b32_f16 v28, v42, v107
	v_pack_b32_f16 v29, v65, v67
	v_pack_b32_f16 v35, v43, v45
	ds_store_2addr_b32 v140, v5, v4 offset1:5
	ds_store_2addr_b32 v140, v6, v7 offset0:10 offset1:15
	ds_store_b32 v140, v8 offset:80
	ds_store_2addr_b32 v142, v1, v9 offset1:5
	ds_store_2addr_b32 v142, v10, v3 offset0:10 offset1:15
	ds_store_b32 v142, v11 offset:80
	;; [unrolled: 3-line block ×3, first 2 shown]
	v_add_co_u32 v8, s2, s6, v40
	s_wait_alu 0xf1ff
	v_add_co_ci_u32_e64 v9, null, s7, 0, s2
	global_wb scope:SCOPE_SE
	s_wait_dscnt 0x0
	s_barrier_signal -1
	s_barrier_wait -1
	global_inv scope:SCOPE_SE
	s_clause 0x2
	global_load_b128 v[4:7], v[30:31], off offset:80
	global_load_b128 v[0:3], v34, s[6:7] offset:80
	global_load_b128 v[8:11], v[8:9], off offset:80
	v_add_co_u32 v52, null, 0x384, v81
	v_add_co_u32 v50, null, 0x2a3, v81
	v_add_co_u32 v28, s2, 0xffffff83, v81
	s_delay_alu instid0(VALU_DEP_3) | instskip(NEXT) | instid1(VALU_DEP_3)
	v_and_b32_e32 v51, 0xffff, v52
	v_and_b32_e32 v60, 0xffff, v50
	s_wait_alu 0xf1ff
	v_add_co_ci_u32_e64 v29, null, 0, -1, s2
	s_wait_alu 0xfffd
	v_cndmask_b32_e32 v34, v28, v81, vcc_lo
	v_mul_u32_u24_e32 v30, 0x625, v51
	v_mul_u32_u24_e32 v31, 0x625, v60
	v_cndmask_b32_e64 v35, v29, 0, vcc_lo
	v_sub_nc_u16 v29, v49, v27
	v_and_b32_e32 v42, 0xffff, v25
	v_lshrrev_b32_e32 v28, 16, v30
	v_lshrrev_b32_e32 v30, 16, v26
	;; [unrolled: 1-line block ×3, first 2 shown]
	v_lshrrev_b16 v29, 1, v29
	s_delay_alu instid0(VALU_DEP_4) | instskip(NEXT) | instid1(VALU_DEP_4)
	v_sub_nc_u16 v26, v52, v28
	v_sub_nc_u16 v40, v48, v30
	s_delay_alu instid0(VALU_DEP_4) | instskip(NEXT) | instid1(VALU_DEP_4)
	v_sub_nc_u16 v41, v50, v31
	v_add_nc_u16 v27, v29, v27
	s_delay_alu instid0(VALU_DEP_4) | instskip(NEXT) | instid1(VALU_DEP_4)
	v_lshrrev_b16 v43, 1, v26
	v_lshrrev_b16 v40, 1, v40
	s_delay_alu instid0(VALU_DEP_4) | instskip(NEXT) | instid1(VALU_DEP_4)
	v_lshrrev_b16 v41, 1, v41
	v_lshrrev_b16 v62, 6, v27
	v_lshlrev_b64_e32 v[25:26], 3, v[34:35]
	v_add_nc_u16 v28, v43, v28
	v_add_nc_u16 v29, v40, v30
	;; [unrolled: 1-line block ×3, first 2 shown]
	v_mul_u32_u24_e32 v31, 0x7d, v42
	s_delay_alu instid0(VALU_DEP_4) | instskip(NEXT) | instid1(VALU_DEP_4)
	v_lshrrev_b16 v61, 6, v28
	v_lshrrev_b16 v63, 6, v29
	s_delay_alu instid0(VALU_DEP_4)
	v_lshrrev_b16 v64, 6, v30
	v_mul_lo_u16 v28, 0x7d, v62
	v_add_lshl_u32 v112, v31, v38, 2
	v_mul_lo_u16 v27, 0x7d, v61
	v_mul_lo_u16 v29, 0x7d, v63
	;; [unrolled: 1-line block ×3, first 2 shown]
	v_sub_nc_u16 v66, v49, v28
	v_mad_u16 v28, 0x7d, v36, v32
	v_sub_nc_u16 v65, v52, v27
	v_sub_nc_u16 v67, v48, v29
	;; [unrolled: 1-line block ×3, first 2 shown]
	v_mad_u16 v27, 0x7d, v37, v39
	v_lshlrev_b16 v30, 3, v66
	v_lshlrev_b16 v29, 3, v65
	;; [unrolled: 1-line block ×4, first 2 shown]
	v_and_b32_e32 v27, 0xffff, v27
	v_and_b32_e32 v41, 0xffff, v30
	;; [unrolled: 1-line block ×5, first 2 shown]
	v_lshlrev_b32_e32 v114, 2, v27
	v_and_b32_e32 v28, 0xffff, v28
	v_add_co_u32 v27, s2, s6, v29
	ds_load_b32 v108, v69 offset:12600
	ds_load_2addr_b32 v[29:30], v104 offset0:8 offset1:233
	ds_load_2addr_b32 v[31:32], v93 offset0:10 offset1:235
	ds_load_2addr_b32 v[35:36], v96 offset0:4 offset1:229
	ds_load_2addr_b32 v[37:38], v106 offset0:2 offset1:227
	ds_load_2addr_b32 v[39:40], v105 offset0:6 offset1:231
	ds_load_2addr_b32 v[43:44], v99 offset0:12 offset1:237
	ds_load_2addr_b32 v[45:46], v69 offset1:225
	v_lshlrev_b32_e32 v113, 2, v28
	s_wait_alu 0xf1ff
	v_add_co_ci_u32_e64 v28, null, s7, 0, s2
	v_add_co_u32 v41, s2, s6, v41
	v_add_co_u32 v25, vcc_lo, s6, v25
	s_wait_alu 0xf1ff
	v_add_co_ci_u32_e64 v42, null, s7, 0, s2
	v_add_co_u32 v53, s2, s6, v53
	s_wait_alu 0xfffd
	v_add_co_ci_u32_e32 v26, vcc_lo, s7, v26, vcc_lo
	s_wait_dscnt 0x7
	v_lshrrev_b32_e32 v109, 16, v108
	s_wait_dscnt 0x6
	v_lshrrev_b32_e32 v110, 16, v29
	;; [unrolled: 2-line block ×5, first 2 shown]
	v_lshrrev_b32_e32 v118, 16, v30
	v_lshrrev_b32_e32 v119, 16, v35
	s_wait_dscnt 0x2
	v_lshrrev_b32_e32 v120, 16, v39
	v_lshrrev_b32_e32 v121, 16, v40
	v_lshrrev_b32_e32 v122, 16, v31
	s_wait_dscnt 0x1
	v_lshrrev_b32_e32 v124, 16, v44
	;; [unrolled: 4-line block ×3, first 2 shown]
	v_lshrrev_b32_e32 v137, 16, v46
	s_wait_alu 0xf1ff
	v_add_co_ci_u32_e64 v54, null, s7, 0, s2
	global_wb scope:SCOPE_SE
	s_wait_loadcnt 0x0
	s_barrier_signal -1
	s_barrier_wait -1
	global_inv scope:SCOPE_SE
	v_cmp_gt_u16_e32 vcc_lo, 0x96, v47
	v_lshlrev_b32_e32 v48, 3, v48
	v_lshrrev_b32_e32 v126, 16, v7
	v_lshrrev_b32_e32 v128, 16, v5
	;; [unrolled: 1-line block ×12, first 2 shown]
	v_mul_f16_e64 v139, v109, v126
	v_mul_f16_e64 v143, v108, v126
	;; [unrolled: 1-line block ×24, first 2 shown]
	v_fma_f16 v108, v108, v7, -v139
	v_fmac_f16_e64 v143, v109, v7
	v_fmac_f16_e64 v144, v110, v5
	;; [unrolled: 1-line block ×4, first 2 shown]
	v_fma_f16 v29, v29, v5, -v145
	v_fma_f16 v32, v32, v6, -v147
	;; [unrolled: 1-line block ×10, first 2 shown]
	v_fmac_f16_e64 v151, v117, v0
	v_fmac_f16_e64 v160, v120, v1
	;; [unrolled: 1-line block ×3, first 2 shown]
	v_fma_f16 v43, v43, v3, -v168
	v_fmac_f16_e64 v176, v123, v3
	v_fmac_f16_e64 v161, v121, v9
	;; [unrolled: 1-line block ×5, first 2 shown]
	v_add_f16_e32 v109, v29, v32
	v_add_f16_e32 v110, v36, v108
	v_sub_f16_e32 v115, v29, v36
	v_sub_f16_e32 v117, v32, v108
	v_add_f16_e64 v118, v144, v146
	v_add_f16_e64 v119, v148, v143
	;; [unrolled: 1-line block ×3, first 2 shown]
	v_sub_f16_e64 v121, v144, v148
	v_add_f16_e64 v145, v46, v35
	v_sub_f16_e64 v147, v40, v35
	v_sub_f16_e64 v149, v31, v44
	v_add_f16_e64 v179, v138, v151
	v_add_f16_e64 v180, v160, v153
	v_sub_f16_e64 v191, v148, v143
	v_sub_f16_e64 v148, v148, v144
	v_add_f16_e64 v195, v45, v38
	v_sub_f16_e64 v196, v143, v146
	v_add_f16_e64 v198, v39, v30
	v_add_f16_e64 v184, v151, v176
	;; [unrolled: 1-line block ×3, first 2 shown]
	v_sub_f16_e64 v122, v146, v143
	v_add_f16_e32 v124, v40, v31
	v_add_f16_e64 v150, v161, v167
	v_add_f16_e32 v111, v37, v36
	v_add_f16_e64 v139, v35, v44
	v_add_f16_e64 v152, v155, v177
	v_sub_f16_e64 v123, v144, v146
	v_add_f16_e64 v154, v137, v155
	v_sub_f16_e64 v162, v38, v39
	v_sub_f16_e64 v170, v151, v160
	;; [unrolled: 1-line block ×9, first 2 shown]
	v_sub_f16_e32 v38, v38, v43
	v_fma_f16 v109, -0.5, v109, v37
	v_fmac_f16_e32 v37, -0.5, v110
	v_add_f16_e32 v110, v115, v117
	v_fma_f16 v115, -0.5, v118, v116
	v_fmac_f16_e32 v116, -0.5, v119
	v_add_f16_e64 v119, v147, v149
	v_fma_f16 v149, -0.5, v180, v138
	v_add_f16_e64 v120, v120, v144
	v_add_f16_e64 v40, v145, v40
	;; [unrolled: 1-line block ×5, first 2 shown]
	v_fma_f16 v148, -0.5, v198, v45
	v_sub_f16_e64 v157, v161, v155
	v_sub_f16_e64 v158, v167, v177
	v_sub_f16_e64 v201, v160, v153
	v_fmac_f16_e64 v138, -0.5, v184
	v_fma_f16 v45, -0.5, v200, v45
	v_sub_f16_e64 v168, v43, v30
	v_sub_f16_e64 v187, v155, v161
	;; [unrolled: 1-line block ×3, first 2 shown]
	v_sub_f16_e32 v35, v35, v44
	v_add_f16_e32 v117, v121, v122
	v_fma_f16 v118, -0.5, v124, v46
	v_fma_f16 v121, -0.5, v150, v137
	v_sub_f16_e64 v192, v36, v108
	v_sub_f16_e32 v36, v36, v29
	v_sub_f16_e64 v194, v161, v167
	v_fmac_f16_e64 v46, -0.5, v139
	v_fmac_f16_e64 v137, -0.5, v152
	v_add_f16_e32 v29, v111, v29
	v_sub_f16_e64 v178, v176, v153
	v_sub_f16_e64 v182, v30, v43
	v_sub_f16_e64 v188, v44, v31
	v_add_f16_e64 v111, v154, v161
	v_add_f16_e32 v30, v39, v30
	v_add_f16_e64 v39, v144, v153
	v_fma_f16 v144, 0xbb9c, v123, v37
	v_fmac_f16_e32 v37, 0x3b9c, v123
	v_add_f16_e32 v31, v40, v31
	v_fma_f16 v40, 0x3b9c, v190, v116
	v_fmac_f16_e64 v116, 0xbb9c, v190
	v_add_f16_e64 v120, v120, v146
	v_fma_f16 v146, 0x3b9c, v151, v148
	v_fma_f16 v160, 0xbb9c, v38, v149
	v_sub_f16_e64 v185, v153, v176
	v_add_f16_e64 v122, v157, v158
	v_fma_f16 v154, 0xbb9c, v201, v45
	v_fmac_f16_e64 v45, 0x3b9c, v201
	v_fma_f16 v158, 0x3b9c, v199, v138
	v_fmac_f16_e64 v138, 0xbb9c, v199
	v_fmac_f16_e64 v148, 0xbb9c, v151
	;; [unrolled: 1-line block ×3, first 2 shown]
	v_sub_f16_e64 v189, v177, v167
	v_add_f16_e64 v124, v162, v168
	v_fma_f16 v161, 0x3b9c, v155, v118
	v_fma_f16 v162, 0xbb9c, v35, v121
	v_sub_f16_e64 v193, v108, v32
	v_fma_f16 v153, 0xbb9c, v194, v46
	v_fmac_f16_e64 v46, 0x3b9c, v194
	v_add_f16_e32 v29, v29, v32
	v_fma_f16 v32, 0x3b9c, v197, v137
	v_fmac_f16_e64 v137, 0xbb9c, v197
	v_add_f16_e64 v139, v170, v178
	v_add_f16_e64 v111, v111, v167
	v_fmac_f16_e64 v118, 0xbb9c, v155
	v_fmac_f16_e32 v121, 0x3b9c, v35
	v_fma_f16 v167, 0x3b9c, v191, v109
	v_fma_f16 v168, 0xbb9c, v192, v115
	v_fmac_f16_e64 v109, 0xbb9c, v191
	v_fmac_f16_e64 v115, 0x3b9c, v192
	;; [unrolled: 1-line block ×6, first 2 shown]
	v_add_f16_e64 v147, v181, v182
	v_add_f16_e64 v150, v183, v185
	v_fmac_f16_e64 v154, 0x38b4, v151
	v_fmac_f16_e64 v45, 0xb8b4, v151
	;; [unrolled: 1-line block ×6, first 2 shown]
	v_add_f16_e64 v152, v186, v188
	v_add_f16_e64 v157, v187, v189
	v_fmac_f16_e64 v161, 0x38b4, v194
	v_fmac_f16_e64 v162, 0xb8b4, v197
	v_fmac_f16_e64 v46, 0xb8b4, v155
	v_fmac_f16_e64 v137, 0x38b4, v35
	v_fmac_f16_e64 v153, 0x38b4, v155
	v_fmac_f16_e32 v32, 0xb8b4, v35
	v_add_f16_e64 v36, v36, v193
	v_add_f16_e32 v30, v30, v43
	v_add_f16_e64 v39, v39, v176
	v_fmac_f16_e64 v118, 0xb8b4, v194
	v_fmac_f16_e64 v121, 0x38b4, v197
	v_add_f16_e32 v29, v29, v108
	v_add_f16_e64 v35, v120, v143
	v_fmac_f16_e64 v167, 0x38b4, v123
	v_fmac_f16_e64 v168, 0xb8b4, v190
	;; [unrolled: 1-line block ×4, first 2 shown]
	v_fmac_f16_e32 v109, 0xb8b4, v123
	v_fmac_f16_e64 v115, 0x38b4, v190
	v_fmac_f16_e32 v37, 0x34f2, v110
	v_fmac_f16_e32 v116, 0x34f2, v117
	v_fmac_f16_e64 v146, 0x34f2, v124
	v_fmac_f16_e64 v160, 0x34f2, v139
	v_add_f16_e32 v31, v31, v44
	v_add_f16_e64 v38, v111, v177
	v_fmac_f16_e64 v154, 0x34f2, v147
	v_fmac_f16_e64 v45, 0x34f2, v147
	;; [unrolled: 1-line block ×8, first 2 shown]
	v_fmac_f16_e32 v46, 0x34f2, v119
	v_fmac_f16_e64 v137, 0x34f2, v122
	v_fmac_f16_e64 v153, 0x34f2, v119
	v_fmac_f16_e32 v32, 0x34f2, v122
	v_pack_b32_f16 v30, v30, v39
	v_fmac_f16_e64 v118, 0x34f2, v152
	v_fmac_f16_e64 v121, 0x34f2, v157
	v_pack_b32_f16 v29, v29, v35
	v_fmac_f16_e64 v167, 0x34f2, v36
	v_fmac_f16_e64 v168, 0x34f2, v145
	;; [unrolled: 1-line block ×3, first 2 shown]
	v_fmac_f16_e32 v40, 0x34f2, v117
	v_fmac_f16_e32 v109, 0x34f2, v36
	v_fmac_f16_e64 v115, 0x34f2, v145
	v_pack_b32_f16 v35, v37, v116
	v_pack_b32_f16 v37, v146, v160
	v_pack_b32_f16 v31, v31, v38
	v_pack_b32_f16 v38, v154, v158
	v_pack_b32_f16 v39, v45, v138
	v_pack_b32_f16 v43, v148, v149
	v_pack_b32_f16 v44, v161, v162
	v_pack_b32_f16 v36, v46, v137
	v_pack_b32_f16 v32, v153, v32
	v_pack_b32_f16 v45, v118, v121
	v_pack_b32_f16 v46, v167, v168
	v_pack_b32_f16 v40, v144, v40
	v_pack_b32_f16 v108, v109, v115
	ds_store_2addr_b32 v112, v30, v37 offset1:25
	ds_store_2addr_b32 v112, v38, v39 offset0:50 offset1:75
	ds_store_b32 v112, v43 offset:400
	ds_store_2addr_b32 v114, v31, v44 offset1:25
	ds_store_2addr_b32 v114, v32, v36 offset0:50 offset1:75
	ds_store_b32 v114, v45 offset:400
	;; [unrolled: 3-line block ×3, first 2 shown]
	v_add_co_u32 v35, s2, s6, v107
	global_wb scope:SCOPE_SE
	s_wait_dscnt 0x0
	s_barrier_signal -1
	s_barrier_wait -1
	global_inv scope:SCOPE_SE
	global_load_b64 v[29:30], v[27:28], off offset:480
	s_wait_alu 0xf1ff
	v_add_co_ci_u32_e64 v36, null, s7, 0, s2
	s_clause 0x3
	global_load_b64 v[25:26], v[25:26], off offset:480
	global_load_b64 v[27:28], v[41:42], off offset:480
	;; [unrolled: 1-line block ×4, first 2 shown]
	v_mul_u32_u24_e32 v37, 0x5d87, v51
	v_mul_u32_u24_e32 v38, 0x5d87, v60
	v_add_co_u32 v41, s2, 0xffffff6a, v81
	s_wait_alu 0xf1ff
	v_add_co_ci_u32_e64 v42, null, 0, -1, s2
	v_lshrrev_b32_e32 v37, 16, v37
	v_lshrrev_b32_e32 v38, 16, v38
	s_wait_alu 0xfffd
	v_cndmask_b32_e32 v45, v41, v49, vcc_lo
	v_cndmask_b32_e32 v46, v42, v33, vcc_lo
	v_cmp_lt_u16_e32 vcc_lo, 0x7c, v47
	v_sub_nc_u16 v39, v52, v37
	v_sub_nc_u16 v40, v50, v38
	v_lshlrev_b32_e32 v51, 3, v81
	v_lshlrev_b32_e32 v49, 3, v49
	s_wait_alu 0xfffd
	v_cndmask_b32_e64 v33, 0, 0x177, vcc_lo
	v_lshrrev_b16 v39, 1, v39
	v_lshrrev_b16 v40, 1, v40
	s_delay_alu instid0(VALU_DEP_3) | instskip(NEXT) | instid1(VALU_DEP_3)
	v_add_lshl_u32 v107, v34, v33, 2
	v_add_nc_u16 v37, v39, v37
	s_delay_alu instid0(VALU_DEP_3) | instskip(NEXT) | instid1(VALU_DEP_2)
	v_add_nc_u16 v38, v40, v38
	v_lshrrev_b16 v39, 8, v37
	s_delay_alu instid0(VALU_DEP_2) | instskip(SKIP_1) | instid1(VALU_DEP_3)
	v_lshrrev_b16 v53, 8, v38
	v_lshlrev_b64_e32 v[37:38], 3, v[45:46]
	v_mul_lo_u16 v33, 0x177, v39
	s_delay_alu instid0(VALU_DEP_3) | instskip(NEXT) | instid1(VALU_DEP_3)
	v_mul_lo_u16 v34, 0x177, v53
	v_add_co_u32 v39, vcc_lo, s6, v37
	s_wait_alu 0xfffd
	s_delay_alu instid0(VALU_DEP_4)
	v_add_co_ci_u32_e32 v40, vcc_lo, s7, v38, vcc_lo
	v_sub_nc_u16 v46, v52, v33
	v_sub_nc_u16 v54, v50, v34
	v_mad_u16 v33, 0x177, v62, v66
	v_mad_u16 v34, 0x177, v63, v67
	;; [unrolled: 1-line block ×4, first 2 shown]
	v_lshlrev_b16 v41, 3, v46
	v_lshlrev_b16 v42, 3, v54
	v_and_b32_e32 v33, 0xffff, v33
	v_and_b32_e32 v34, 0xffff, v34
	;; [unrolled: 1-line block ×6, first 2 shown]
	v_lshlrev_b32_e32 v109, 2, v33
	v_lshlrev_b32_e32 v108, 2, v34
	;; [unrolled: 1-line block ×4, first 2 shown]
	ds_load_b32 v139, v69 offset:12600
	ds_load_2addr_b32 v[33:34], v104 offset0:8 offset1:233
	ds_load_2addr_b32 v[37:38], v96 offset0:4 offset1:229
	;; [unrolled: 1-line block ×4, first 2 shown]
	ds_load_2addr_b32 v[60:61], v69 offset1:225
	ds_load_2addr_b32 v[64:65], v99 offset0:12 offset1:237
	ds_load_2addr_b32 v[66:67], v106 offset0:2 offset1:227
	v_add_co_u32 v62, s2, s6, v62
	s_wait_alu 0xf1ff
	v_add_co_ci_u32_e64 v63, null, s7, 0, s2
	v_add_co_u32 v137, s2, s6, v68
	s_wait_alu 0xf1ff
	v_add_co_ci_u32_e64 v138, null, s7, 0, s2
	global_wb scope:SCOPE_SE
	s_wait_loadcnt_dscnt 0x0
	s_barrier_signal -1
	s_barrier_wait -1
	global_inv scope:SCOPE_SE
	v_mad_u16 v54, 0x465, v53, v54
	v_lshrrev_b32_e32 v68, 16, v139
	v_lshrrev_b32_e32 v143, 16, v34
	;; [unrolled: 1-line block ×15, first 2 shown]
	v_cmp_lt_u16_e32 vcc_lo, 0x95, v47
	v_and_b32_e32 v46, 0xffff, v46
	v_and_b32_e32 v54, 0xffff, v54
	s_add_nc_u64 s[2:3], s[4:5], 0x34bc
	s_wait_alu 0xfffd
	v_cndmask_b32_e64 v47, 0, 0x465, vcc_lo
	v_lshrrev_b32_e32 v120, 16, v30
	v_lshrrev_b32_e32 v122, 16, v29
	;; [unrolled: 1-line block ×10, first 2 shown]
	v_mul_f16_e64 v158, v68, v120
	v_mul_f16_e64 v160, v139, v120
	v_mul_f16_e64 v161, v34, v122
	v_mul_f16_e64 v162, v143, v122
	v_mul_f16_e64 v167, v145, v115
	v_mul_f16_e64 v168, v146, v116
	v_mul_f16_e64 v176, v41, v116
	v_mul_f16_e64 v179, v42, v117
	v_mul_f16_e64 v180, v43, v118
	v_mul_f16_e64 v182, v38, v115
	v_mul_f16_e64 v170, v147, v117
	v_mul_f16_e64 v177, v148, v118
	v_mul_f16_e64 v178, v151, v119
	v_mul_f16_e64 v181, v44, v119
	v_mul_f16_e64 v183, v152, v123
	v_mul_f16_e64 v184, v33, v123
	v_mul_f16_e64 v185, v153, v121
	v_mul_f16_e64 v186, v154, v124
	v_mul_f16_e64 v187, v64, v121
	v_mul_f16_e64 v188, v65, v124
	v_fma_f16 v41, v41, v26, -v168
	v_fma_f16 v139, v139, v30, -v158
	v_fmac_f16_e64 v160, v68, v30
	v_fmac_f16_e64 v161, v143, v29
	;; [unrolled: 1-line block ×5, first 2 shown]
	v_fma_f16 v34, v34, v29, -v162
	v_fma_f16 v38, v38, v25, -v167
	v_fmac_f16_e64 v180, v148, v27
	v_fma_f16 v42, v42, v28, -v170
	v_fma_f16 v43, v43, v27, -v177
	;; [unrolled: 1-line block ×6, first 2 shown]
	v_fmac_f16_e64 v181, v151, v31
	v_fmac_f16_e64 v187, v153, v32
	;; [unrolled: 1-line block ×4, first 2 shown]
	v_add_f16_e64 v68, v34, v139
	v_add_f16_e64 v145, v161, v160
	;; [unrolled: 1-line block ×3, first 2 shown]
	v_sub_f16_e64 v147, v161, v160
	v_add_f16_e64 v152, v180, v179
	v_add_f16_e64 v158, v38, v41
	;; [unrolled: 1-line block ×8, first 2 shown]
	v_sub_f16_e64 v154, v180, v179
	v_sub_f16_e64 v168, v182, v176
	v_add_f16_e64 v170, v33, v65
	v_add_f16_e64 v178, v184, v188
	v_add_f16_e64 v180, v155, v184
	v_sub_f16_e64 v182, v184, v188
	v_add_f16_e64 v183, v44, v64
	v_add_f16_e64 v184, v66, v44
	;; [unrolled: 1-line block ×5, first 2 shown]
	v_sub_f16_e32 v43, v43, v42
	v_sub_f16_e32 v38, v38, v41
	v_fmac_f16_e32 v37, -0.5, v68
	v_fmac_f16_e64 v149, -0.5, v152
	v_add_f16_e64 v68, v162, v176
	v_add_f16_e64 v41, v161, v41
	v_fmac_f16_e64 v150, -0.5, v167
	v_fma_f16 v60, -0.5, v158, v60
	v_sub_f16_e64 v34, v34, v139
	v_fmac_f16_e64 v144, -0.5, v145
	v_fmac_f16_e64 v61, -0.5, v148
	v_add_f16_e64 v177, v67, v33
	v_sub_f16_e32 v33, v33, v65
	v_sub_f16_e64 v181, v181, v187
	v_sub_f16_e32 v44, v44, v64
	v_add_f16_e64 v42, v151, v42
	v_add_f16_e64 v145, v153, v179
	v_fmac_f16_e64 v67, -0.5, v170
	v_fmac_f16_e64 v155, -0.5, v178
	v_fma_f16 v66, -0.5, v183, v66
	v_add_f16_e64 v148, v185, v187
	v_add_f16_e64 v64, v184, v64
	v_fmac_f16_e64 v157, -0.5, v186
	v_fma_f16 v152, 0xbaee, v43, v149
	v_fmac_f16_e64 v149, 0x3aee, v43
	v_pack_b32_f16 v41, v41, v68
	v_fma_f16 v43, 0x3aee, v168, v60
	v_fma_f16 v68, 0xbaee, v38, v150
	v_fmac_f16_e64 v60, 0xbaee, v168
	v_fmac_f16_e64 v150, 0x3aee, v38
	v_add_f16_e64 v139, v143, v139
	v_add_f16_e64 v143, v146, v160
	v_fma_f16 v146, 0x3aee, v147, v37
	v_fmac_f16_e64 v37, 0xbaee, v147
	v_fma_f16 v147, 0xbaee, v34, v144
	v_fmac_f16_e64 v144, 0x3aee, v34
	;; [unrolled: 2-line block ×3, first 2 shown]
	v_add_f16_e64 v65, v177, v65
	v_add_f16_e64 v151, v180, v188
	v_pack_b32_f16 v38, v42, v145
	v_fma_f16 v42, 0x3aee, v182, v67
	v_fma_f16 v145, 0xbaee, v33, v155
	v_fmac_f16_e64 v155, 0x3aee, v33
	v_pack_b32_f16 v33, v64, v148
	v_fma_f16 v64, 0x3aee, v181, v66
	v_fma_f16 v148, 0xbaee, v44, v157
	v_fmac_f16_e64 v67, 0xbaee, v182
	v_fmac_f16_e64 v66, 0xbaee, v181
	;; [unrolled: 1-line block ×3, first 2 shown]
	v_pack_b32_f16 v43, v43, v68
	v_pack_b32_f16 v60, v60, v150
	;; [unrolled: 1-line block ×12, first 2 shown]
	ds_store_2addr_b32 v107, v41, v43 offset1:125
	ds_store_b32 v107, v60 offset:1000
	ds_store_2addr_b32 v109, v38, v34 offset1:125
	ds_store_b32 v109, v61 offset:1000
	;; [unrolled: 2-line block ×5, first 2 shown]
	global_wb scope:SCOPE_SE
	s_wait_dscnt 0x0
	s_barrier_signal -1
	s_barrier_wait -1
	global_inv scope:SCOPE_SE
	s_clause 0x4
	global_load_b64 v[33:34], v[62:63], off offset:1480
	global_load_b64 v[37:38], v51, s[6:7] offset:1480
	global_load_b64 v[41:42], v[39:40], off offset:1480
	global_load_b64 v[39:40], v[137:138], off offset:1480
	global_load_b64 v[43:44], v51, s[6:7] offset:2080
	ds_load_b32 v143, v69 offset:12600
	ds_load_2addr_b32 v[60:61], v104 offset0:8 offset1:233
	ds_load_2addr_b32 v[62:63], v93 offset0:10 offset1:235
	v_lshlrev_b32_e32 v68, 3, v52
	ds_load_2addr_b32 v[52:53], v105 offset0:6 offset1:231
	ds_load_2addr_b32 v[64:65], v99 offset0:12 offset1:237
	;; [unrolled: 1-line block ×3, first 2 shown]
	ds_load_2addr_b32 v[154:155], v69 offset1:225
	ds_load_2addr_b32 v[157:158], v106 offset0:2 offset1:227
	v_add_lshl_u32 v139, v45, v47, 2
	v_lshlrev_b32_e32 v137, 2, v46
	v_lshlrev_b32_e32 v138, 2, v54
	global_wb scope:SCOPE_SE
	s_wait_loadcnt_dscnt 0x0
	s_barrier_signal -1
	s_barrier_wait -1
	global_inv scope:SCOPE_SE
	v_lshrrev_b32_e32 v45, 16, v143
	v_lshrrev_b32_e32 v46, 16, v61
	;; [unrolled: 1-line block ×25, first 2 shown]
	v_mul_f16_e64 v183, v61, v145
	v_mul_f16_e64 v184, v46, v145
	;; [unrolled: 1-line block ×20, first 2 shown]
	v_fma_f16 v62, v62, v38, -v185
	v_fma_f16 v61, v61, v33, -v184
	v_fmac_f16_e64 v183, v46, v33
	v_fmac_f16_e64 v187, v47, v38
	v_fmac_f16_e64 v194, v162, v39
	v_fmac_f16_e64 v198, v168, v40
	v_fmac_f16_e64 v199, v178, v37
	v_fma_f16 v46, v67, v37, -v200
	v_fma_f16 v143, v143, v34, -v181
	v_fmac_f16_e64 v182, v45, v34
	v_fma_f16 v63, v63, v42, -v186
	v_fma_f16 v52, v52, v41, -v189
	v_fmac_f16_e64 v191, v160, v41
	v_fmac_f16_e64 v188, v54, v42
	v_fma_f16 v53, v53, v43, -v190
	v_fma_f16 v60, v60, v39, -v192
	;; [unrolled: 1-line block ×4, first 2 shown]
	v_fmac_f16_e64 v193, v161, v43
	v_fmac_f16_e64 v197, v167, v44
	v_add_f16_e32 v54, v66, v61
	v_add_f16_e64 v181, v194, v198
	v_add_f16_e64 v186, v46, v62
	;; [unrolled: 1-line block ×14, first 2 shown]
	v_sub_f16_e32 v46, v46, v62
	v_sub_f16_e64 v192, v199, v187
	v_sub_f16_e32 v60, v60, v64
	v_sub_f16_e64 v61, v61, v143
	v_fmac_f16_e64 v177, -0.5, v181
	v_fmac_f16_e64 v179, -0.5, v190
	v_add_f16_e64 v54, v54, v143
	v_fma_f16 v143, -0.5, v186, v154
	v_add_f16_e64 v67, v170, v183
	v_add_f16_e64 v162, v155, v52
	;; [unrolled: 1-line block ×3, first 2 shown]
	v_sub_f16_e64 v183, v183, v182
	v_fmac_f16_e32 v66, -0.5, v47
	v_fmac_f16_e64 v170, -0.5, v65
	v_sub_f16_e32 v52, v52, v63
	v_sub_f16_e64 v191, v191, v188
	v_fmac_f16_e64 v155, -0.5, v160
	v_fmac_f16_e64 v176, -0.5, v161
	v_add_f16_e64 v195, v157, v53
	v_sub_f16_e32 v53, v53, v45
	v_add_f16_e64 v199, v180, v193
	v_sub_f16_e64 v193, v193, v197
	v_sub_f16_e64 v194, v194, v198
	v_fmac_f16_e64 v158, -0.5, v168
	v_add_f16_e64 v47, v185, v62
	v_add_f16_e64 v62, v189, v187
	v_fmac_f16_e64 v180, -0.5, v200
	v_fma_f16 v154, -0.5, v196, v157
	v_add_f16_e64 v64, v178, v64
	v_fma_f16 v168, 0xbaee, v60, v177
	v_fmac_f16_e64 v177, 0x3aee, v60
	v_fma_f16 v60, 0x3aee, v192, v143
	v_fma_f16 v178, 0xbaee, v46, v179
	v_add_f16_e64 v63, v162, v63
	v_add_f16_e64 v65, v167, v188
	v_fma_f16 v157, 0x3aee, v183, v66
	v_fmac_f16_e64 v66, 0xbaee, v183
	v_fma_f16 v162, 0xbaee, v61, v170
	v_fmac_f16_e64 v170, 0x3aee, v61
	v_fmac_f16_e64 v143, 0xbaee, v192
	;; [unrolled: 1-line block ×3, first 2 shown]
	v_fma_f16 v61, 0x3aee, v191, v155
	v_fma_f16 v167, 0xbaee, v52, v176
	v_add_f16_e64 v45, v195, v45
	v_add_f16_e64 v160, v199, v197
	;; [unrolled: 1-line block ×4, first 2 shown]
	v_fmac_f16_e64 v155, 0xbaee, v191
	v_fmac_f16_e64 v176, 0x3aee, v52
	v_fma_f16 v52, 0x3aee, v194, v158
	v_fmac_f16_e64 v158, 0xbaee, v194
	v_fma_f16 v46, 0x3aee, v193, v154
	;; [unrolled: 2-line block ×3, first 2 shown]
	v_fmac_f16_e64 v180, 0x3aee, v53
	v_pack_b32_f16 v47, v47, v62
	v_pack_b32_f16 v60, v60, v178
	;; [unrolled: 1-line block ×15, first 2 shown]
	ds_store_b32 v69, v47
	ds_store_b32 v69, v60 offset:1500
	ds_store_b32 v69, v66 offset:3000
	ds_store_b32 v139, v53
	ds_store_b32 v139, v61 offset:1500
	ds_store_b32 v139, v64 offset:3000
	;; [unrolled: 1-line block ×5, first 2 shown]
	ds_store_b32 v138, v62
	ds_store_b32 v138, v52 offset:1500
	ds_store_b32 v138, v65 offset:3000
	;; [unrolled: 1-line block ×5, first 2 shown]
	v_lshlrev_b32_e32 v47, 3, v50
	global_wb scope:SCOPE_SE
	s_wait_dscnt 0x0
	s_barrier_signal -1
	s_barrier_wait -1
	global_inv scope:SCOPE_SE
	s_clause 0x4
	global_load_b64 v[45:46], v68, s[6:7] offset:4480
	global_load_b64 v[53:54], v51, s[6:7] offset:4480
	;; [unrolled: 1-line block ×5, first 2 shown]
	ds_load_b32 v68, v69 offset:12600
	ds_load_2addr_b32 v[60:61], v104 offset0:8 offset1:233
	ds_load_2addr_b32 v[62:63], v96 offset0:4 offset1:229
	ds_load_2addr_b32 v[64:65], v93 offset0:10 offset1:235
	ds_load_2addr_b32 v[66:67], v105 offset0:6 offset1:231
	ds_load_2addr_b32 v[176:177], v99 offset0:12 offset1:237
	ds_load_2addr_b32 v[178:179], v69 offset1:225
	ds_load_2addr_b32 v[180:181], v106 offset0:2 offset1:227
	v_add_nc_u32_e32 v143, 0x2680, v69
	s_wait_dscnt 0x7
	v_lshrrev_b32_e32 v182, 16, v68
	s_wait_dscnt 0x6
	v_lshrrev_b32_e32 v183, 16, v61
	v_lshrrev_b32_e32 v190, 16, v60
	s_wait_dscnt 0x4
	v_lshrrev_b32_e32 v186, 16, v64
	;; [unrolled: 3-line block ×4, first 2 shown]
	v_lshrrev_b32_e32 v185, 16, v63
	v_lshrrev_b32_e32 v191, 16, v176
	v_lshrrev_b32_e32 v184, 16, v62
	s_wait_dscnt 0x1
	v_lshrrev_b32_e32 v193, 16, v179
	v_lshrrev_b32_e32 v194, 16, v178
	s_wait_dscnt 0x0
	v_lshrrev_b32_e32 v195, 16, v181
	v_lshrrev_b32_e32 v196, 16, v180
	s_wait_loadcnt 0x3
	v_lshrrev_b32_e32 v167, 16, v54
	s_wait_loadcnt 0x2
	v_lshrrev_b32_e32 v160, 16, v52
	v_lshrrev_b32_e32 v154, 16, v46
	s_wait_loadcnt 0x1
	v_lshrrev_b32_e32 v161, 16, v49
	v_lshrrev_b32_e32 v168, 16, v51
	;; [unrolled: 1-line block ×3, first 2 shown]
	s_wait_loadcnt 0x0
	v_lshrrev_b32_e32 v157, 16, v47
	v_lshrrev_b32_e32 v158, 16, v48
	v_mul_f16_e64 v199, v68, v154
	v_mul_f16_e64 v202, v186, v167
	;; [unrolled: 1-line block ×4, first 2 shown]
	v_lshrrev_b32_e32 v170, 16, v53
	v_lshrrev_b32_e32 v162, 16, v50
	v_mul_f16_e64 v197, v182, v154
	v_mul_f16_e64 v206, v65, v160
	;; [unrolled: 1-line block ×8, first 2 shown]
	v_fma_f16 v64, v64, v54, -v202
	v_fma_f16 v65, v65, v52, -v203
	v_mul_f16_e64 v202, v190, v157
	v_mul_f16_e64 v203, v60, v157
	v_fma_f16 v67, v67, v49, -v208
	v_mul_f16_e64 v208, v192, v158
	v_fmac_f16_e64 v199, v182, v46
	v_mul_f16_e64 v182, v177, v158
	v_mul_f16_e64 v201, v185, v170
	;; [unrolled: 1-line block ×3, first 2 shown]
	v_fma_f16 v68, v68, v46, -v197
	v_mul_f16_e64 v197, v176, v162
	v_fmac_f16_e64 v206, v187, v52
	v_fmac_f16_e64 v209, v188, v51
	v_fma_f16 v66, v66, v51, -v207
	v_mul_f16_e64 v207, v191, v162
	v_fma_f16 v61, v61, v45, -v198
	v_fmac_f16_e64 v200, v183, v45
	v_fma_f16 v60, v60, v47, -v202
	v_fma_f16 v177, v177, v48, -v208
	v_fmac_f16_e64 v203, v190, v47
	v_fmac_f16_e64 v182, v192, v48
	v_fma_f16 v63, v63, v53, -v201
	v_fmac_f16_e64 v204, v185, v53
	v_fmac_f16_e64 v205, v186, v54
	;; [unrolled: 1-line block ×3, first 2 shown]
	v_add_f16_e64 v191, v209, v206
	v_fma_f16 v176, v176, v50, -v207
	v_fmac_f16_e64 v210, v189, v49
	v_add_f16_e64 v183, v61, v68
	v_add_f16_e64 v186, v200, v199
	;; [unrolled: 1-line block ×5, first 2 shown]
	v_sub_f16_e64 v188, v200, v199
	v_add_f16_e64 v192, v193, v209
	v_add_f16_e64 v200, v63, v64
	v_fmac_f16_e64 v193, -0.5, v191
	v_add_f16_e64 v191, v204, v205
	v_add_f16_e64 v185, v62, v61
	;; [unrolled: 1-line block ×6, first 2 shown]
	v_fmac_f16_e64 v62, -0.5, v183
	v_add_f16_e64 v183, v195, v203
	v_fmac_f16_e64 v184, -0.5, v186
	v_add_f16_e64 v186, v67, v176
	;; [unrolled: 2-line block ×4, first 2 shown]
	v_sub_f16_e64 v60, v60, v177
	v_sub_f16_e32 v63, v63, v64
	v_sub_f16_e64 v204, v204, v205
	v_fma_f16 v178, -0.5, v200, v178
	v_fmac_f16_e64 v194, -0.5, v191
	v_sub_f16_e32 v61, v61, v68
	v_sub_f16_e64 v198, v209, v206
	v_sub_f16_e32 v66, v66, v65
	v_fmac_f16_e64 v179, -0.5, v189
	v_add_f16_e64 v189, v180, v67
	v_add_f16_e64 v64, v201, v64
	;; [unrolled: 1-line block ×3, first 2 shown]
	v_sub_f16_e64 v67, v67, v176
	v_sub_f16_e64 v209, v210, v197
	v_fma_f16 v180, -0.5, v186, v180
	v_add_f16_e64 v186, v202, v205
	v_add_f16_e64 v65, v190, v65
	;; [unrolled: 1-line block ×3, first 2 shown]
	v_fmac_f16_e64 v196, -0.5, v208
	v_sub_f16_e64 v203, v203, v182
	v_fma_f16 v191, 0xbaee, v60, v195
	v_fmac_f16_e64 v195, 0x3aee, v60
	v_fma_f16 v60, 0x3aee, v204, v178
	v_fma_f16 v192, 0xbaee, v63, v194
	v_fmac_f16_e64 v178, 0xbaee, v204
	v_fmac_f16_e64 v194, 0x3aee, v63
	v_add_f16_e64 v182, v183, v182
	v_add_f16_e64 v68, v185, v68
	;; [unrolled: 1-line block ×3, first 2 shown]
	v_fma_f16 v185, 0x3aee, v188, v62
	v_fmac_f16_e64 v62, 0xbaee, v188
	v_fma_f16 v187, 0xbaee, v61, v184
	v_fmac_f16_e64 v184, 0x3aee, v61
	v_fma_f16 v61, 0x3aee, v198, v179
	v_fma_f16 v188, 0xbaee, v66, v193
	v_pack_b32_f16 v63, v64, v186
	v_pack_b32_f16 v64, v65, v190
	v_fma_f16 v65, 0x3aee, v209, v180
	v_fma_f16 v186, 0xbaee, v67, v196
	v_add_f16_e64 v176, v189, v176
	v_add_f16_e64 v189, v201, v197
	v_add_f16_e64 v177, v207, v177
	v_fmac_f16_e64 v179, 0xbaee, v198
	v_fmac_f16_e64 v193, 0x3aee, v66
	;; [unrolled: 1-line block ×4, first 2 shown]
	v_fma_f16 v66, 0x3aee, v203, v181
	v_fmac_f16_e64 v181, 0xbaee, v203
	v_pack_b32_f16 v60, v60, v192
	v_pack_b32_f16 v178, v178, v194
	;; [unrolled: 1-line block ×13, first 2 shown]
	ds_store_b32 v69, v60 offset:4500
	ds_store_b32 v69, v178 offset:9000
	ds_store_2addr_b32 v69, v63, v64 offset1:225
	ds_store_2addr_b32 v105, v61, v65 offset0:6 offset1:231
	ds_store_2addr_b32 v143, v177, v180 offset0:11 offset1:236
	;; [unrolled: 1-line block ×3, first 2 shown]
	ds_store_b32 v69, v179 offset:11700
	ds_store_b32 v69, v68 offset:3600
	ds_store_2addr_b32 v104, v66, v181 offset0:8 offset1:233
	ds_store_b32 v69, v62 offset:12600
	global_wb scope:SCOPE_SE
	s_wait_dscnt 0x0
	s_barrier_signal -1
	s_barrier_wait -1
	global_inv scope:SCOPE_SE
	s_clause 0xe
	global_load_b32 v62, v69, s[4:5] offset:13500
	global_load_b32 v68, v69, s[2:3] offset:2700
	;; [unrolled: 1-line block ×15, first 2 shown]
	ds_load_2addr_b32 v[60:61], v69 offset1:225
	ds_load_b32 v178, v69 offset:12600
	s_wait_dscnt 0x1
	v_lshrrev_b32_e32 v64, 16, v60
	v_lshrrev_b32_e32 v179, 16, v61
	s_wait_dscnt 0x0
	v_lshrrev_b32_e32 v191, 16, v178
	s_wait_loadcnt 0xd
	v_lshrrev_b32_e32 v192, 16, v68
	s_wait_loadcnt 0xc
	;; [unrolled: 2-line block ×9, first 2 shown]
	v_lshrrev_b32_e32 v199, 16, v185
	v_mul_f16_e64 v202, v61, v66
	v_mul_f16_e64 v203, v191, v67
	;; [unrolled: 1-line block ×3, first 2 shown]
	v_lshrrev_b32_e32 v63, 16, v62
	s_wait_loadcnt 0x4
	v_lshrrev_b32_e32 v196, 16, v186
	v_fmac_f16_e64 v202, v179, v176
	s_wait_loadcnt 0x2
	v_lshrrev_b32_e32 v200, 16, v188
	v_fmac_f16_e64 v204, v191, v177
	v_mul_f16_e32 v65, v60, v63
	v_mul_f16_e32 v63, v64, v63
	s_wait_loadcnt 0x1
	v_lshrrev_b32_e32 v201, 16, v189
	s_wait_loadcnt 0x0
	v_lshrrev_b32_e32 v191, 16, v190
	v_fmac_f16_e32 v65, v64, v62
	v_fma_f16 v60, v60, v62, -v63
	s_delay_alu instid0(VALU_DEP_1)
	v_pack_b32_f16 v60, v60, v65
	ds_store_b32 v69, v60
	ds_load_2addr_b32 v[62:63], v106 offset0:2 offset1:227
	ds_load_2addr_b32 v[64:65], v96 offset0:4 offset1:229
	v_mul_f16_e64 v60, v179, v66
	ds_load_2addr_b32 v[66:67], v104 offset0:8 offset1:233
	v_fma_f16 v205, v61, v176, -v60
	v_fma_f16 v176, v178, v177, -v203
	ds_load_2addr_b32 v[60:61], v93 offset0:10 offset1:235
	v_lshrrev_b32_e32 v203, 16, v187
	v_pack_b32_f16 v202, v205, v202
	v_pack_b32_f16 v204, v176, v204
	ds_load_2addr_b32 v[176:177], v105 offset0:6 offset1:231
	ds_load_2addr_b32 v[178:179], v99 offset0:12 offset1:237
	s_wait_dscnt 0x5
	v_lshrrev_b32_e32 v205, 16, v63
	v_mul_f16_e64 v206, v63, v192
	v_lshrrev_b32_e32 v207, 16, v62
	s_wait_dscnt 0x4
	v_lshrrev_b32_e32 v208, 16, v64
	v_mul_f16_e64 v209, v64, v193
	v_mul_f16_e64 v192, v205, v192
	v_fmac_f16_e64 v206, v205, v68
	v_mul_f16_e64 v205, v207, v196
	v_mul_f16_e64 v196, v62, v196
	;; [unrolled: 1-line block ×3, first 2 shown]
	s_wait_dscnt 0x3
	v_lshrrev_b32_e32 v210, 16, v67
	v_fma_f16 v63, v63, v68, -v192
	v_fma_f16 v62, v62, v186, -v205
	v_lshrrev_b32_e32 v205, 16, v65
	v_fmac_f16_e64 v196, v207, v186
	v_mul_f16_e64 v207, v65, v197
	v_mul_f16_e64 v68, v67, v194
	s_wait_dscnt 0x2
	v_lshrrev_b32_e32 v192, 16, v60
	v_mul_f16_e64 v197, v205, v197
	v_mul_f16_e64 v186, v60, v195
	v_fmac_f16_e64 v209, v208, v180
	s_wait_dscnt 0x1
	v_lshrrev_b32_e32 v208, 16, v176
	v_fma_f16 v64, v64, v180, -v193
	v_mul_f16_e64 v180, v176, v198
	v_fma_f16 v65, v65, v183, -v197
	v_fmac_f16_e64 v207, v205, v183
	v_lshrrev_b32_e32 v183, 16, v66
	v_mul_f16_e64 v205, v66, v200
	v_lshrrev_b32_e32 v193, 16, v177
	v_mul_f16_e64 v197, v177, v199
	v_mul_f16_e64 v194, v210, v194
	v_fmac_f16_e64 v68, v210, v181
	s_wait_dscnt 0x0
	v_lshrrev_b32_e32 v210, 16, v179
	v_mul_f16_e64 v195, v192, v195
	v_fmac_f16_e64 v186, v192, v182
	v_mul_f16_e64 v192, v179, v201
	v_mul_f16_e64 v198, v208, v198
	v_fmac_f16_e64 v180, v208, v184
	v_lshrrev_b32_e32 v208, 16, v178
	v_mul_f16_e64 v200, v183, v200
	v_fmac_f16_e64 v205, v183, v188
	v_lshrrev_b32_e32 v183, 16, v61
	v_mul_f16_e64 v199, v193, v199
	v_fmac_f16_e64 v197, v193, v185
	v_mul_f16_e64 v193, v178, v191
	v_mul_f16_e64 v201, v210, v201
	v_fmac_f16_e64 v192, v210, v189
	v_mul_f16_e64 v210, v61, v203
	v_mul_f16_e64 v191, v208, v191
	;; [unrolled: 1-line block ×3, first 2 shown]
	v_fma_f16 v67, v67, v181, -v194
	v_fma_f16 v60, v60, v182, -v195
	;; [unrolled: 1-line block ×3, first 2 shown]
	v_fmac_f16_e64 v193, v208, v190
	v_fmac_f16_e64 v210, v183, v187
	v_fma_f16 v177, v177, v185, -v199
	v_fma_f16 v66, v66, v188, -v200
	;; [unrolled: 1-line block ×5, first 2 shown]
	v_add_nc_u32_e32 v208, 0xa80, v69
	v_pack_b32_f16 v63, v63, v206
	v_pack_b32_f16 v64, v64, v209
	v_add_nc_u32_e32 v183, 0x1f80, v69
	v_pack_b32_f16 v67, v67, v68
	v_pack_b32_f16 v60, v60, v186
	v_add_nc_u32_e32 v181, 0x380, v69
	v_pack_b32_f16 v62, v62, v196
	v_add_nc_u32_e32 v182, 0x1180, v69
	v_pack_b32_f16 v68, v176, v180
	v_pack_b32_f16 v65, v65, v207
	;; [unrolled: 1-line block ×7, first 2 shown]
	ds_store_2addr_b32 v208, v63, v64 offset0:3 offset1:228
	ds_store_2addr_b32 v183, v67, v60 offset0:9 offset1:234
	;; [unrolled: 1-line block ×7, first 2 shown]
	global_wb scope:SCOPE_SE
	s_wait_dscnt 0x0
	s_barrier_signal -1
	s_barrier_wait -1
	global_inv scope:SCOPE_SE
	ds_load_2addr_b32 v[58:59], v105 offset0:6 offset1:231
	ds_load_2addr_b32 v[60:61], v106 offset0:2 offset1:227
	;; [unrolled: 1-line block ×6, first 2 shown]
	ds_load_2addr_b32 v[178:179], v69 offset1:225
	ds_load_b32 v68, v69 offset:12600
	global_wb scope:SCOPE_SE
	s_wait_dscnt 0x0
	s_barrier_signal -1
	s_barrier_wait -1
	global_inv scope:SCOPE_SE
	v_pk_add_f16 v186, v61, v58 neg_lo:[0,1] neg_hi:[0,1]
	v_pk_add_f16 v180, v61, v62
	v_pk_add_f16 v181, v58, v65
	;; [unrolled: 1-line block ×6, first 2 shown]
	v_pk_add_f16 v187, v58, v61 neg_lo:[0,1] neg_hi:[0,1]
	v_pk_add_f16 v188, v58, v65 neg_lo:[0,1] neg_hi:[0,1]
	;; [unrolled: 1-line block ×5, first 2 shown]
	v_pk_add_f16 v194, v60, v177
	v_pk_add_f16 v195, v62, v65 neg_lo:[0,1] neg_hi:[0,1]
	v_pk_add_f16 v197, v66, v63 neg_lo:[0,1] neg_hi:[0,1]
	;; [unrolled: 1-line block ×4, first 2 shown]
	v_pk_add_f16 v192, v64, v67
	v_pk_add_f16 v193, v177, v68
	v_pk_add_f16 v176, v176, v63 neg_lo:[0,1] neg_hi:[0,1]
	v_pk_add_f16 v201, v64, v67 neg_lo:[0,1] neg_hi:[0,1]
	;; [unrolled: 1-line block ×5, first 2 shown]
	v_pk_fma_f16 v180, v180, 0.5, v178 op_sel_hi:[1,0,1] neg_lo:[1,0,0] neg_hi:[1,0,0]
	v_pk_fma_f16 v178, v181, 0.5, v178 op_sel_hi:[1,0,1] neg_lo:[1,0,0] neg_hi:[1,0,0]
	;; [unrolled: 1-line block ×4, first 2 shown]
	v_pk_add_f16 v58, v184, v58
	v_pk_add_f16 v59, v185, v59
	;; [unrolled: 1-line block ×6, first 2 shown]
	v_pk_mul_f16 v190, 0x3b9c, v188 op_sel_hi:[0,1]
	v_pk_mul_f16 v191, 0x3b9c, v61 op_sel_hi:[0,1]
	v_pk_fma_f16 v182, v192, 0.5, v60 op_sel_hi:[1,0,1] neg_lo:[1,0,0] neg_hi:[1,0,0]
	v_pk_fma_f16 v60, v193, 0.5, v60 op_sel_hi:[1,0,1] neg_lo:[1,0,0] neg_hi:[1,0,0]
	v_pk_mul_f16 v192, 0x3b9c, v189 op_sel_hi:[0,1]
	v_pk_mul_f16 v193, 0x3b9c, v176 op_sel_hi:[0,1]
	v_pk_add_f16 v196, v65, v62 neg_lo:[0,1] neg_hi:[0,1]
	v_pk_mul_f16 v194, 0x3b9c, v201 op_sel_hi:[0,1]
	v_pk_add_f16 v202, v67, v68 neg_lo:[0,1] neg_hi:[0,1]
	v_pk_add_f16 v203, v68, v67 neg_lo:[0,1] neg_hi:[0,1]
	v_pk_mul_f16 v195, 0x3b9c, v199 op_sel_hi:[0,1]
	v_pk_mul_f16 v61, 0x38b4, v61 op_sel_hi:[0,1]
	;; [unrolled: 1-line block ×3, first 2 shown]
	v_pk_add_f16 v58, v58, v65
	v_pk_add_f16 v59, v59, v66
	;; [unrolled: 1-line block ×3, first 2 shown]
	v_pk_add_f16 v65, v180, v190 op_sel:[0,1] op_sel_hi:[1,0]
	v_pk_add_f16 v66, v180, v190 op_sel:[0,1] op_sel_hi:[1,0] neg_lo:[0,1] neg_hi:[0,1]
	v_pk_add_f16 v67, v178, v191 op_sel:[0,1] op_sel_hi:[1,0] neg_lo:[0,1] neg_hi:[0,1]
	v_pk_add_f16 v178, v178, v191 op_sel:[0,1] op_sel_hi:[1,0]
	v_pk_mul_f16 v176, 0x38b4, v176 op_sel_hi:[0,1]
	v_pk_mul_f16 v189, 0x38b4, v189 op_sel_hi:[0,1]
	v_pk_add_f16 v180, v179, v192 op_sel:[0,1] op_sel_hi:[1,0]
	v_pk_add_f16 v179, v179, v192 op_sel:[0,1] op_sel_hi:[1,0] neg_lo:[0,1] neg_hi:[0,1]
	v_pk_add_f16 v190, v181, v193 op_sel:[0,1] op_sel_hi:[1,0] neg_lo:[0,1] neg_hi:[0,1]
	v_pk_add_f16 v181, v181, v193 op_sel:[0,1] op_sel_hi:[1,0]
	v_pk_add_f16 v184, v187, v196
	v_pk_mul_f16 v196, 0x38b4, v199 op_sel_hi:[0,1]
	v_pk_add_f16 v191, v60, v194 op_sel:[0,1] op_sel_hi:[1,0]
	v_pk_add_f16 v60, v60, v194 op_sel:[0,1] op_sel_hi:[1,0] neg_lo:[0,1] neg_hi:[0,1]
	v_pk_mul_f16 v197, 0x38b4, v201 op_sel_hi:[0,1]
	v_pk_add_f16 v192, v182, v195 op_sel:[0,1] op_sel_hi:[1,0] neg_lo:[0,1] neg_hi:[0,1]
	v_pk_add_f16 v182, v182, v195 op_sel:[0,1] op_sel_hi:[1,0]
	v_pk_add_f16 v58, v58, v62
	v_pk_add_f16 v59, v59, v63
	v_pk_add_f16 v62, v65, v61 op_sel:[0,1] op_sel_hi:[1,0] neg_lo:[0,1] neg_hi:[0,1]
	v_pk_add_f16 v61, v66, v61 op_sel:[0,1] op_sel_hi:[1,0]
	v_pk_add_f16 v63, v67, v188 op_sel:[0,1] op_sel_hi:[1,0] neg_lo:[0,1] neg_hi:[0,1]
	v_pk_add_f16 v65, v178, v188 op_sel:[0,1] op_sel_hi:[1,0]
	;; [unrolled: 2-line block ×6, first 2 shown]
	v_pk_add_f16 v64, v64, v68
	v_bfi_b32 v68, 0xffff, v62, v61
	v_bfi_b32 v61, 0xffff, v61, v62
	;; [unrolled: 1-line block ×7, first 2 shown]
	v_pk_add_f16 v177, v177, v202
	v_bfi_b32 v176, 0xffff, v178, v176
	v_bfi_b32 v178, 0xffff, v179, v60
	;; [unrolled: 1-line block ×3, first 2 shown]
	v_pk_add_f16 v187, v200, v203
	v_bfi_b32 v179, 0xffff, v180, v181
	v_bfi_b32 v180, 0xffff, v181, v180
	v_pk_fma_f16 v62, 0x34f2, v183, v62 op_sel_hi:[0,1,1]
	v_pk_fma_f16 v68, 0x34f2, v184, v68 op_sel_hi:[0,1,1]
	;; [unrolled: 1-line block ×12, first 2 shown]
	ds_store_2addr_b32 v56, v58, v62 offset1:1
	ds_store_2addr_b32 v56, v68, v61 offset0:2 offset1:3
	ds_store_b32 v56, v63 offset:16
	ds_store_2addr_b32 v55, v59, v67 offset1:1
	ds_store_2addr_b32 v55, v65, v66 offset0:2 offset1:3
	ds_store_b32 v55, v176 offset:16
	;; [unrolled: 3-line block ×3, first 2 shown]
	global_wb scope:SCOPE_SE
	s_wait_dscnt 0x0
	s_barrier_signal -1
	s_barrier_wait -1
	global_inv scope:SCOPE_SE
	ds_load_2addr_b32 v[57:58], v96 offset0:4 offset1:229
	ds_load_2addr_b32 v[59:60], v105 offset0:6 offset1:231
	;; [unrolled: 1-line block ×5, first 2 shown]
	ds_load_b32 v176, v69 offset:12600
	ds_load_2addr_b32 v[55:56], v106 offset0:2 offset1:227
	ds_load_2addr_b32 v[67:68], v69 offset1:225
	global_wb scope:SCOPE_SE
	s_wait_dscnt 0x0
	s_barrier_signal -1
	s_barrier_wait -1
	global_inv scope:SCOPE_SE
	v_lshrrev_b32_e32 v177, 16, v57
	v_mul_f16_e64 v178, v174, v57
	v_lshrrev_b32_e32 v179, 16, v60
	v_mul_f16_e64 v180, v175, v60
	;; [unrolled: 2-line block ×4, first 2 shown]
	v_lshrrev_b32_e32 v185, 16, v58
	v_lshrrev_b32_e32 v186, 16, v62
	v_mul_f16_e64 v187, v169, v58
	v_mul_f16_e64 v188, v171, v62
	v_lshrrev_b32_e32 v189, 16, v65
	v_mul_f16_e64 v190, v165, v65
	v_lshrrev_b32_e32 v191, 16, v176
	;; [unrolled: 2-line block ×4, first 2 shown]
	v_lshrrev_b32_e32 v196, 16, v56
	v_mul_f16_e64 v197, v159, v56
	v_mul_f16_e64 v198, v156, v66
	v_lshrrev_b32_e32 v199, 16, v63
	v_mul_f16_e64 v200, v164, v63
	v_lshrrev_b32_e32 v203, 16, v67
	v_mul_f16_e64 v174, v174, v177
	v_fma_f16 v177, v20, v177, -v178
	v_mul_f16_e64 v175, v175, v179
	v_fma_f16 v178, v21, v179, -v180
	;; [unrolled: 2-line block ×4, first 2 shown]
	v_mul_f16_e64 v169, v169, v185
	v_mul_f16_e64 v171, v171, v186
	v_fma_f16 v181, v16, v185, -v187
	v_mul_f16_e64 v165, v165, v189
	v_fma_f16 v182, v17, v189, -v190
	v_fma_f16 v183, v18, v186, -v188
	;; [unrolled: 1-line block ×3, first 2 shown]
	v_mul_f16_e64 v159, v159, v196
	v_fma_f16 v185, v12, v196, -v197
	v_mul_f16_e64 v163, v163, v193
	v_fma_f16 v186, v13, v193, -v194
	v_mul_f16_e64 v156, v156, v195
	v_mul_f16_e64 v164, v164, v199
	v_fma_f16 v187, v14, v195, -v198
	v_fma_f16 v188, v15, v199, -v200
	v_mul_f16_e64 v166, v166, v191
	v_lshrrev_b32_e32 v202, 16, v68
	v_lshrrev_b32_e32 v201, 16, v55
	v_fmac_f16_e64 v174, v20, v57
	v_fmac_f16_e64 v169, v16, v58
	;; [unrolled: 1-line block ×8, first 2 shown]
	v_add_f16_e64 v12, v182, v183
	v_add_f16_e64 v13, v181, v184
	v_sub_f16_e64 v15, v182, v181
	v_sub_f16_e64 v16, v183, v184
	v_add_f16_e64 v17, v178, v179
	v_add_f16_e64 v18, v177, v180
	;; [unrolled: 1-line block ×5, first 2 shown]
	v_fmac_f16_e64 v175, v21, v60
	v_fmac_f16_e64 v172, v22, v61
	;; [unrolled: 1-line block ×4, first 2 shown]
	v_sub_f16_e64 v20, v178, v177
	v_sub_f16_e64 v21, v179, v180
	;; [unrolled: 1-line block ×10, first 2 shown]
	v_add_f16_e64 v19, v202, v177
	v_add_f16_e64 v14, v201, v181
	v_sub_f16_e64 v65, v186, v187
	v_fma_f16 v12, -0.5, v12, v201
	v_fmac_f16_e64 v201, -0.5, v13
	v_add_f16_e32 v13, v15, v16
	v_fma_f16 v15, -0.5, v17, v202
	v_fmac_f16_e64 v202, -0.5, v18
	v_fma_f16 v18, -0.5, v56, v203
	v_fmac_f16_e64 v203, -0.5, v57
	v_add_f16_e64 v57, v55, v169
	v_sub_f16_e64 v190, v159, v163
	v_add_f16_e64 v58, v58, v186
	v_sub_f16_e64 v186, v163, v159
	v_add_f16_e64 v195, v67, v159
	v_add_f16_e64 v197, v163, v156
	v_sub_f16_e64 v198, v159, v164
	v_sub_f16_e64 v200, v165, v171
	v_add_f16_e64 v159, v159, v164
	v_add_f16_e32 v16, v20, v21
	v_add_f16_e32 v17, v22, v23
	;; [unrolled: 1-line block ×5, first 2 shown]
	v_add_f16_e64 v23, v165, v171
	v_add_f16_e64 v56, v169, v166
	v_sub_f16_e64 v59, v165, v169
	v_sub_f16_e64 v60, v171, v166
	v_add_f16_e64 v61, v175, v172
	v_add_f16_e64 v63, v68, v174
	v_sub_f16_e64 v199, v175, v172
	v_add_f16_e64 v62, v174, v173
	v_add_f16_e64 v19, v19, v178
	v_sub_f16_e64 v66, v178, v179
	v_sub_f16_e64 v176, v182, v183
	;; [unrolled: 1-line block ×8, first 2 shown]
	v_add_f16_e64 v14, v14, v182
	v_sub_f16_e64 v182, v169, v165
	v_sub_f16_e64 v194, v166, v171
	;; [unrolled: 1-line block ×3, first 2 shown]
	v_add_f16_e64 v57, v57, v165
	v_fma_f16 v165, 0xbb9c, v200, v201
	v_fmac_f16_e64 v201, 0x3b9c, v200
	v_fma_f16 v159, -0.5, v159, v67
	v_fma_f16 v67, -0.5, v197, v67
	v_sub_f16_e64 v196, v163, v156
	v_add_f16_e64 v163, v195, v163
	v_sub_f16_e64 v177, v177, v180
	v_sub_f16_e64 v174, v174, v173
	v_fma_f16 v23, -0.5, v23, v55
	v_fmac_f16_e32 v55, -0.5, v56
	v_add_f16_e32 v56, v59, v60
	v_fma_f16 v59, -0.5, v61, v68
	v_add_f16_e64 v63, v63, v175
	v_fma_f16 v175, 0xbb9c, v199, v202
	v_fmac_f16_e64 v202, 0x3b9c, v199
	v_sub_f16_e64 v181, v181, v184
	v_fmac_f16_e32 v68, -0.5, v62
	v_add_f16_e64 v19, v19, v179
	v_sub_f16_e64 v191, v164, v156
	v_add_f16_e64 v60, v64, v189
	v_add_f16_e64 v62, v186, v192
	;; [unrolled: 1-line block ×4, first 2 shown]
	v_fma_f16 v182, 0x3b9c, v198, v18
	v_fma_f16 v186, 0x3b9c, v169, v12
	v_fmac_f16_e64 v12, 0xbb9c, v169
	v_fmac_f16_e64 v201, 0xb8b4, v169
	;; [unrolled: 1-line block ×3, first 2 shown]
	v_fma_f16 v169, 0xbb9c, v185, v67
	v_fma_f16 v179, 0xbb9c, v196, v203
	v_fmac_f16_e64 v203, 0x3b9c, v196
	v_add_f16_e64 v156, v163, v156
	v_fma_f16 v163, 0x3b9c, v65, v159
	v_fmac_f16_e64 v159, 0xbb9c, v65
	v_fmac_f16_e64 v18, 0xbb9c, v198
	;; [unrolled: 1-line block ×3, first 2 shown]
	v_add_f16_e64 v14, v14, v183
	v_fma_f16 v183, 0x3b9c, v174, v15
	v_fmac_f16_e64 v15, 0xbb9c, v174
	v_add_f16_e64 v63, v63, v172
	v_fmac_f16_e64 v202, 0xb8b4, v174
	v_fmac_f16_e64 v175, 0x38b4, v174
	v_fma_f16 v172, 0xbb9c, v177, v59
	v_fma_f16 v174, 0x3b9c, v176, v55
	v_fmac_f16_e64 v55, 0xbb9c, v176
	v_add_f16_e64 v19, v19, v180
	v_add_f16_e64 v57, v57, v171
	v_fma_f16 v171, 0x3b9c, v66, v68
	v_fmac_f16_e32 v68, 0xbb9c, v66
	v_fmac_f16_e64 v59, 0x3b9c, v177
	v_fma_f16 v180, 0xbb9c, v181, v23
	v_fmac_f16_e64 v23, 0x3b9c, v181
	v_add_f16_e64 v61, v190, v191
	v_add_f16_e64 v58, v58, v187
	v_fmac_f16_e64 v182, 0x38b4, v196
	v_fmac_f16_e64 v169, 0xb8b4, v65
	;; [unrolled: 1-line block ×7, first 2 shown]
	v_fmac_f16_e32 v67, 0x38b4, v65
	v_fmac_f16_e64 v183, 0x38b4, v199
	v_fmac_f16_e64 v172, 0xb8b4, v66
	;; [unrolled: 1-line block ×8, first 2 shown]
	v_fmac_f16_e32 v59, 0x38b4, v66
	v_fmac_f16_e64 v180, 0xb8b4, v176
	v_fmac_f16_e64 v23, 0x38b4, v176
	v_add_f16_e64 v58, v58, v188
	v_add_f16_e64 v156, v156, v164
	v_fmac_f16_e64 v182, 0x34f2, v17
	v_fmac_f16_e64 v174, 0xb8b4, v181
	;; [unrolled: 1-line block ×7, first 2 shown]
	v_fmac_f16_e32 v18, 0x34f2, v17
	v_fmac_f16_e32 v67, 0x34f2, v61
	v_add_f16_e64 v14, v14, v184
	v_add_f16_e64 v17, v63, v173
	v_fmac_f16_e64 v202, 0x34f2, v16
	v_fmac_f16_e64 v175, 0x34f2, v16
	;; [unrolled: 1-line block ×3, first 2 shown]
	v_add_f16_e64 v16, v57, v166
	v_fmac_f16_e64 v201, 0x34f2, v13
	v_fmac_f16_e32 v55, 0x34f2, v56
	v_fmac_f16_e64 v172, 0x34f2, v64
	v_fmac_f16_e32 v15, 0x34f2, v21
	;; [unrolled: 2-line block ×3, first 2 shown]
	v_fmac_f16_e32 v68, 0x34f2, v60
	v_fmac_f16_e64 v171, 0x34f2, v60
	v_fmac_f16_e32 v59, 0x34f2, v64
	v_fmac_f16_e64 v180, 0x34f2, v178
	v_fmac_f16_e64 v23, 0x34f2, v178
	;; [unrolled: 1-line block ×3, first 2 shown]
	v_pack_b32_f16 v13, v156, v58
	v_fmac_f16_e64 v174, 0x34f2, v56
	v_pack_b32_f16 v20, v169, v182
	v_pack_b32_f16 v21, v163, v179
	;; [unrolled: 1-line block ×14, first 2 shown]
	ds_store_2addr_b32 v140, v13, v20 offset1:5
	ds_store_2addr_b32 v140, v21, v22 offset0:10 offset1:15
	ds_store_b32 v140, v18 offset:80
	ds_store_2addr_b32 v142, v17, v55 offset1:5
	ds_store_2addr_b32 v142, v56, v19 offset0:10 offset1:15
	ds_store_b32 v142, v15 offset:80
	;; [unrolled: 3-line block ×3, first 2 shown]
	global_wb scope:SCOPE_SE
	s_wait_dscnt 0x0
	s_barrier_signal -1
	s_barrier_wait -1
	global_inv scope:SCOPE_SE
	ds_load_2addr_b32 v[14:15], v96 offset0:4 offset1:229
	ds_load_2addr_b32 v[16:17], v105 offset0:6 offset1:231
	;; [unrolled: 1-line block ×5, first 2 shown]
	ds_load_b32 v57, v69 offset:12600
	ds_load_2addr_b32 v[12:13], v106 offset0:2 offset1:227
	ds_load_2addr_b32 v[55:56], v69 offset1:225
	global_wb scope:SCOPE_SE
	s_wait_dscnt 0x0
	s_barrier_signal -1
	s_barrier_wait -1
	global_inv scope:SCOPE_SE
	v_lshrrev_b32_e32 v58, 16, v14
	v_mul_f16_e64 v59, v135, v14
	v_lshrrev_b32_e32 v60, 16, v17
	v_mul_f16_e64 v61, v136, v17
	;; [unrolled: 2-line block ×8, first 2 shown]
	v_lshrrev_b32_e32 v163, 16, v16
	v_lshrrev_b32_e32 v165, 16, v23
	v_lshrrev_b32_e32 v169, 16, v20
	v_lshrrev_b32_e32 v172, 16, v13
	v_mul_f16_e64 v164, v129, v16
	v_mul_f16_e64 v166, v127, v23
	;; [unrolled: 1-line block ×5, first 2 shown]
	v_fma_f16 v58, v8, v58, -v59
	v_mul_f16_e64 v59, v136, v60
	v_fma_f16 v60, v9, v60, -v61
	v_mul_f16_e64 v61, v133, v62
	;; [unrolled: 2-line block ×4, first 2 shown]
	v_mul_f16_e64 v131, v131, v68
	v_fma_f16 v66, v4, v66, -v67
	v_mul_f16_e64 v67, v128, v141
	v_fma_f16 v128, v5, v141, -v142
	v_fma_f16 v68, v6, v68, -v140
	v_mul_f16_e64 v126, v126, v156
	v_fma_f16 v132, v7, v156, -v159
	v_mul_f16_e64 v129, v129, v163
	v_mul_f16_e64 v127, v127, v165
	;; [unrolled: 1-line block ×4, first 2 shown]
	v_lshrrev_b32_e32 v176, 16, v55
	v_fma_f16 v133, v0, v172, -v173
	v_fma_f16 v134, v1, v163, -v164
	;; [unrolled: 1-line block ×4, first 2 shown]
	v_lshrrev_b32_e32 v175, 16, v56
	v_lshrrev_b32_e32 v174, 16, v12
	v_fmac_f16_e32 v65, v4, v15
	v_fmac_f16_e64 v131, v6, v19
	v_fmac_f16_e32 v126, v7, v57
	v_fmac_f16_e32 v67, v5, v22
	v_fmac_f16_e64 v129, v1, v16
	v_fmac_f16_e32 v127, v2, v23
	v_fmac_f16_e64 v130, v3, v20
	v_fmac_f16_e32 v125, v0, v13
	v_add_f16_e64 v0, v128, v68
	v_add_f16_e64 v1, v66, v132
	v_sub_f16_e64 v3, v128, v66
	v_sub_f16_e64 v4, v68, v132
	v_fmac_f16_e32 v59, v9, v17
	v_fmac_f16_e32 v61, v10, v18
	v_fmac_f16_e32 v63, v11, v21
	v_sub_f16_e64 v15, v133, v134
	v_sub_f16_e64 v16, v140, v136
	v_add_f16_e64 v17, v176, v133
	v_add_f16_e64 v18, v134, v136
	v_sub_f16_e64 v21, v134, v133
	v_add_f16_e64 v22, v133, v140
	v_sub_f16_e64 v23, v136, v140
	v_fmac_f16_e64 v135, v8, v14
	v_add_f16_e32 v7, v60, v62
	v_add_f16_e32 v8, v58, v64
	v_sub_f16_e32 v10, v60, v58
	v_sub_f16_e32 v11, v62, v64
	v_add_f16_e64 v9, v175, v58
	v_add_f16_e64 v2, v174, v66
	v_fma_f16 v0, -0.5, v0, v174
	v_fmac_f16_e64 v174, -0.5, v1
	v_add_f16_e32 v1, v3, v4
	v_add_f16_e64 v3, v67, v131
	v_add_f16_e32 v4, v65, v126
	v_sub_f16_e64 v142, v67, v65
	v_sub_f16_e64 v156, v131, v126
	v_add_f16_e64 v172, v129, v127
	v_add_f16_e64 v177, v55, v125
	v_sub_f16_e64 v20, v134, v136
	v_add_f16_e64 v173, v125, v130
	v_add_f16_e32 v15, v15, v16
	v_sub_f16_e64 v16, v125, v129
	v_add_f16_e64 v17, v17, v134
	v_fma_f16 v18, -0.5, v18, v176
	v_sub_f16_e64 v134, v125, v130
	v_fmac_f16_e64 v176, -0.5, v22
	v_sub_f16_e64 v22, v129, v127
	v_sub_f16_e64 v125, v129, v125
	v_add_f16_e32 v21, v21, v23
	v_sub_f16_e64 v23, v127, v130
	v_fma_f16 v7, -0.5, v7, v175
	v_fmac_f16_e64 v175, -0.5, v8
	v_add_f16_e32 v8, v10, v11
	v_add_f16_e32 v10, v59, v61
	v_add_f16_e64 v164, v56, v135
	v_sub_f16_e32 v14, v58, v64
	v_sub_f16_e32 v57, v58, v60
	;; [unrolled: 1-line block ×3, first 2 shown]
	v_add_f16_e64 v11, v135, v63
	v_add_f16_e32 v9, v9, v60
	v_sub_f16_e64 v6, v66, v132
	v_sub_f16_e64 v19, v133, v140
	;; [unrolled: 1-line block ×4, first 2 shown]
	v_add_f16_e64 v141, v12, v65
	v_sub_f16_e64 v169, v59, v61
	v_fma_f16 v3, -0.5, v3, v12
	v_fmac_f16_e32 v12, -0.5, v4
	v_add_f16_e64 v4, v142, v156
	v_fma_f16 v142, -0.5, v172, v55
	v_add_f16_e64 v129, v177, v129
	v_fma_f16 v55, -0.5, v173, v55
	v_add_f16_e32 v23, v125, v23
	v_fma_f16 v125, 0xbb9c, v22, v176
	v_fmac_f16_e64 v176, 0x3b9c, v22
	v_sub_f16_e64 v5, v128, v68
	v_sub_f16_e64 v159, v67, v131
	v_add_f16_e64 v2, v2, v128
	v_sub_f16_e32 v13, v60, v62
	v_sub_f16_e64 v165, v59, v135
	v_sub_f16_e64 v171, v135, v63
	v_sub_f16_e64 v60, v135, v59
	v_fma_f16 v10, -0.5, v10, v56
	v_add_f16_e64 v17, v17, v136
	v_fma_f16 v136, 0x3b9c, v134, v18
	v_fmac_f16_e64 v18, 0xbb9c, v134
	v_add_f16_e64 v59, v164, v59
	v_sub_f16_e64 v163, v65, v126
	v_sub_f16_e64 v135, v63, v61
	v_add_f16_e32 v57, v57, v58
	v_sub_f16_e32 v58, v65, v67
	v_sub_f16_e64 v65, v126, v131
	v_fmac_f16_e32 v56, -0.5, v11
	v_add_f16_e32 v9, v9, v62
	v_sub_f16_e64 v178, v130, v127
	v_add_f16_e64 v66, v66, v133
	v_fma_f16 v133, 0xbb9c, v169, v175
	v_fmac_f16_e64 v175, 0x3b9c, v169
	v_add_f16_e64 v67, v141, v67
	v_add_f16_e64 v127, v129, v127
	v_fma_f16 v129, 0xbb9c, v19, v142
	v_fmac_f16_e64 v125, 0x38b4, v134
	v_fmac_f16_e64 v176, 0xb8b4, v134
	v_fma_f16 v134, 0x3b9c, v20, v55
	v_fmac_f16_e32 v55, 0xbb9c, v20
	v_fma_f16 v128, 0xbb9c, v159, v174
	v_fmac_f16_e64 v174, 0x3b9c, v159
	v_add_f16_e32 v2, v2, v68
	v_fmamk_f16 v68, v5, 0x3b9c, v12
	v_fmac_f16_e32 v12, 0xbb9c, v5
	v_fmac_f16_e64 v142, 0x3b9c, v19
	v_fma_f16 v62, 0x3b9c, v171, v7
	v_fmac_f16_e64 v136, 0x38b4, v22
	v_fmac_f16_e32 v18, 0xb8b4, v22
	v_add_f16_e32 v22, v59, v61
	v_fmamk_f16 v59, v14, 0xbb9c, v10
	v_sub_f16_e64 v166, v61, v63
	v_add_f16_e64 v60, v60, v135
	v_fmac_f16_e64 v7, 0xbb9c, v171
	v_add_f16_e32 v58, v58, v65
	v_fma_f16 v65, 0x3b9c, v163, v0
	v_fmac_f16_e64 v0, 0xbb9c, v163
	v_fma_f16 v135, 0x3b9c, v13, v56
	v_fmac_f16_e32 v56, 0xbb9c, v13
	v_add_f16_e32 v9, v9, v64
	v_fmac_f16_e32 v10, 0x3b9c, v14
	v_fmamk_f16 v64, v6, 0xbb9c, v3
	v_fmac_f16_e32 v3, 0x3b9c, v6
	v_add_f16_e64 v16, v16, v178
	v_fmac_f16_e64 v175, 0xb8b4, v171
	v_fmac_f16_e64 v133, 0x38b4, v171
	v_add_f16_e64 v61, v67, v131
	v_fmac_f16_e64 v129, 0xb8b4, v20
	v_fmac_f16_e64 v134, 0xb8b4, v19
	v_fmac_f16_e32 v55, 0x38b4, v19
	v_fmac_f16_e64 v174, 0xb8b4, v163
	v_fmac_f16_e32 v12, 0x38b4, v6
	v_fmac_f16_e64 v142, 0x38b4, v20
	v_fmac_f16_e64 v62, 0x38b4, v169
	v_fmac_f16_e32 v59, 0xb8b4, v13
	v_add_f16_e64 v11, v165, v166
	v_fmac_f16_e64 v7, 0xb8b4, v169
	v_fmac_f16_e64 v65, 0x38b4, v159
	;; [unrolled: 1-line block ×3, first 2 shown]
	v_fmac_f16_e32 v56, 0x38b4, v14
	v_fmac_f16_e64 v135, 0xb8b4, v14
	v_fmac_f16_e32 v10, 0x38b4, v13
	v_fmac_f16_e32 v64, 0xb8b4, v5
	v_fmac_f16_e32 v3, 0x38b4, v5
	v_add_f16_e64 v17, v17, v140
	v_add_f16_e64 v2, v2, v132
	v_fmac_f16_e64 v128, 0x38b4, v163
	v_fmac_f16_e64 v175, 0x34f2, v8
	v_add_f16_e64 v67, v127, v130
	v_fmac_f16_e64 v136, 0x34f2, v15
	v_fmac_f16_e64 v133, 0x34f2, v8
	v_add_f16_e32 v8, v61, v126
	v_fmac_f16_e32 v68, 0xb8b4, v6
	v_fmac_f16_e64 v129, 0x34f2, v16
	v_fmac_f16_e32 v125, 0x34f2, v21
	v_fmac_f16_e64 v176, 0x34f2, v21
	v_fmac_f16_e32 v18, 0x34f2, v15
	v_add_f16_e32 v15, v22, v63
	v_fmac_f16_e64 v134, 0x34f2, v23
	v_fmac_f16_e32 v55, 0x34f2, v23
	v_fmac_f16_e64 v174, 0x34f2, v1
	v_fmac_f16_e32 v12, 0x34f2, v4
	v_fmac_f16_e64 v142, 0x34f2, v16
	v_fmac_f16_e32 v62, 0x34f2, v57
	v_fmac_f16_e32 v59, 0x34f2, v60
	v_fmac_f16_e32 v7, 0x34f2, v57
	v_fmac_f16_e32 v65, 0x34f2, v66
	v_fmac_f16_e32 v0, 0x34f2, v66
	v_fmac_f16_e32 v56, 0x34f2, v11
	v_fmac_f16_e64 v135, 0x34f2, v11
	v_fmac_f16_e32 v10, 0x34f2, v60
	v_fmac_f16_e32 v64, 0x34f2, v58
	;; [unrolled: 1-line block ×3, first 2 shown]
	v_fmac_f16_e64 v128, 0x34f2, v1
	v_pack_b32_f16 v1, v67, v17
	v_pack_b32_f16 v2, v8, v2
	v_fmac_f16_e32 v68, 0x34f2, v4
	v_pack_b32_f16 v8, v129, v136
	v_pack_b32_f16 v5, v15, v9
	v_pack_b32_f16 v9, v134, v125
	v_pack_b32_f16 v11, v55, v176
	v_pack_b32_f16 v4, v12, v174
	v_pack_b32_f16 v12, v142, v18
	v_pack_b32_f16 v13, v59, v62
	v_pack_b32_f16 v6, v56, v175
	v_pack_b32_f16 v14, v135, v133
	v_pack_b32_f16 v7, v10, v7
	v_pack_b32_f16 v10, v64, v65
	v_pack_b32_f16 v0, v3, v0
	v_pack_b32_f16 v15, v68, v128
	ds_store_2addr_b32 v112, v1, v8 offset1:25
	ds_store_2addr_b32 v112, v9, v11 offset0:50 offset1:75
	ds_store_b32 v112, v12 offset:400
	ds_store_2addr_b32 v114, v5, v13 offset1:25
	ds_store_2addr_b32 v114, v14, v6 offset0:50 offset1:75
	ds_store_b32 v114, v7 offset:400
	;; [unrolled: 3-line block ×3, first 2 shown]
	global_wb scope:SCOPE_SE
	s_wait_dscnt 0x0
	s_barrier_signal -1
	s_barrier_wait -1
	global_inv scope:SCOPE_SE
	ds_load_2addr_b32 v[0:1], v104 offset0:8 offset1:233
	ds_load_b32 v14, v69 offset:12600
	ds_load_2addr_b32 v[2:3], v99 offset0:12 offset1:237
	ds_load_2addr_b32 v[4:5], v105 offset0:6 offset1:231
	;; [unrolled: 1-line block ×4, first 2 shown]
	ds_load_2addr_b32 v[10:11], v69 offset1:225
	ds_load_2addr_b32 v[12:13], v106 offset0:2 offset1:227
	global_wb scope:SCOPE_SE
	s_wait_dscnt 0x0
	s_barrier_signal -1
	s_barrier_wait -1
	global_inv scope:SCOPE_SE
	v_lshrrev_b32_e32 v15, 16, v1
	v_mul_f16_e32 v16, v122, v1
	v_lshrrev_b32_e32 v17, 16, v14
	v_mul_f16_e32 v18, v120, v14
	;; [unrolled: 2-line block ×8, first 2 shown]
	v_lshrrev_b32_e32 v62, 16, v6
	v_lshrrev_b32_e32 v64, 16, v9
	v_mul_f16_e32 v63, v116, v6
	v_mul_f16_e32 v65, v115, v9
	v_mul_f16_e32 v114, v122, v15
	v_fma_f16 v15, v29, v15, -v16
	v_mul_f16_e32 v16, v120, v17
	v_fma_f16 v17, v30, v17, -v18
	v_mul_f16_e32 v18, v123, v19
	;; [unrolled: 2-line block ×4, first 2 shown]
	v_mul_f16_e32 v119, v119, v56
	v_fma_f16 v56, v31, v56, -v57
	v_fma_f16 v23, v32, v23, -v55
	v_mul_f16_e32 v55, v118, v58
	v_fma_f16 v57, v27, v58, -v59
	v_mul_f16_e32 v58, v117, v60
	;; [unrolled: 2-line block ×3, first 2 shown]
	v_mul_f16_e32 v61, v115, v64
	v_fma_f16 v64, v25, v64, -v65
	v_fma_f16 v62, v26, v62, -v63
	v_lshrrev_b32_e32 v66, 16, v8
	v_lshrrev_b32_e32 v67, 16, v11
	;; [unrolled: 1-line block ×3, first 2 shown]
	v_fmac_f16_e32 v16, v30, v14
	v_fmac_f16_e32 v114, v29, v1
	;; [unrolled: 1-line block ×8, first 2 shown]
	v_add_f16_e32 v0, v15, v17
	v_add_f16_e32 v3, v57, v59
	v_lshrrev_b32_e32 v112, 16, v13
	v_fmac_f16_e32 v22, v32, v2
	v_fmac_f16_e32 v119, v31, v5
	v_add_f16_e32 v6, v64, v62
	v_add_f16_e32 v14, v19, v21
	v_lshrrev_b32_e32 v113, 16, v12
	v_add_f16_e32 v1, v66, v15
	v_add_f16_e32 v4, v67, v57
	;; [unrolled: 1-line block ×4, first 2 shown]
	v_fmac_f16_e32 v66, -0.5, v0
	v_add_f16_e32 v0, v114, v16
	v_fmac_f16_e32 v67, -0.5, v3
	v_add_f16_e32 v3, v55, v58
	v_add_f16_e32 v32, v61, v60
	;; [unrolled: 1-line block ×3, first 2 shown]
	v_sub_f16_e32 v2, v15, v17
	v_add_f16_e32 v15, v112, v19
	v_add_f16_e32 v30, v11, v55
	v_sub_f16_e32 v31, v55, v58
	v_fmac_f16_e32 v68, -0.5, v6
	v_sub_f16_e32 v6, v61, v60
	v_fmac_f16_e32 v112, -0.5, v14
	v_add_f16_e32 v14, v18, v20
	v_add_f16_e32 v55, v119, v22
	v_sub_f16_e32 v5, v57, v59
	v_sub_f16_e32 v9, v64, v62
	v_add_f16_e32 v26, v113, v56
	v_sub_f16_e32 v27, v56, v23
	v_add_f16_e32 v28, v8, v114
	v_add_f16_e32 v7, v7, v62
	;; [unrolled: 1-line block ×3, first 2 shown]
	v_sub_f16_e32 v18, v18, v20
	v_add_f16_e32 v56, v12, v119
	v_fmac_f16_e32 v113, -0.5, v25
	v_sub_f16_e32 v25, v119, v22
	v_add_f16_e32 v1, v1, v17
	v_fmac_f16_e32 v8, -0.5, v0
	v_fmac_f16_e32 v11, -0.5, v3
	v_fma_f16 v10, -0.5, v32, v10
	v_add_f16_e32 v17, v35, v60
	v_sub_f16_e32 v19, v19, v21
	v_sub_f16_e32 v29, v114, v16
	v_add_f16_e32 v4, v4, v59
	v_add_f16_e32 v15, v15, v21
	v_fmamk_f16 v21, v6, 0x3aee, v68
	v_fmac_f16_e32 v68, 0xbaee, v6
	v_add_f16_e32 v6, v30, v58
	v_fmac_f16_e32 v13, -0.5, v14
	v_fma_f16 v12, -0.5, v55, v12
	v_fmamk_f16 v14, v18, 0x3aee, v112
	v_fmac_f16_e32 v112, 0xbaee, v18
	v_add_f16_e32 v18, v56, v22
	v_fmamk_f16 v22, v25, 0x3aee, v113
	v_fmac_f16_e32 v113, 0xbaee, v25
	v_fmamk_f16 v25, v2, 0xbaee, v8
	v_fmac_f16_e32 v8, 0x3aee, v2
	v_fmamk_f16 v2, v5, 0xbaee, v11
	v_fmac_f16_e32 v11, 0x3aee, v5
	v_pack_b32_f16 v5, v17, v7
	v_fmamk_f16 v7, v9, 0xbaee, v10
	v_fmac_f16_e32 v10, 0x3aee, v9
	v_fmamk_f16 v3, v31, 0x3aee, v67
	v_fmac_f16_e32 v67, 0xbaee, v31
	v_add_f16_e32 v23, v26, v23
	v_fmamk_f16 v0, v29, 0x3aee, v66
	v_fmac_f16_e32 v66, 0xbaee, v29
	v_add_f16_e32 v16, v28, v16
	v_pack_b32_f16 v4, v6, v4
	v_fmamk_f16 v6, v19, 0xbaee, v13
	v_fmac_f16_e32 v13, 0x3aee, v19
	v_fmamk_f16 v17, v27, 0xbaee, v12
	v_fmac_f16_e32 v12, 0x3aee, v27
	v_add_f16_e32 v20, v36, v20
	v_pack_b32_f16 v7, v7, v21
	v_pack_b32_f16 v10, v10, v68
	v_pack_b32_f16 v2, v2, v3
	v_pack_b32_f16 v11, v11, v67
	v_pack_b32_f16 v9, v18, v23
	v_pack_b32_f16 v1, v16, v1
	v_pack_b32_f16 v8, v8, v66
	v_pack_b32_f16 v3, v13, v112
	v_pack_b32_f16 v13, v17, v22
	v_pack_b32_f16 v12, v12, v113
	v_pack_b32_f16 v6, v6, v14
	v_pack_b32_f16 v0, v25, v0
	v_pack_b32_f16 v15, v20, v15
	ds_store_2addr_b32 v107, v5, v7 offset1:125
	ds_store_b32 v107, v10 offset:1000
	ds_store_2addr_b32 v109, v4, v2 offset1:125
	ds_store_b32 v109, v11 offset:1000
	;; [unrolled: 2-line block ×5, first 2 shown]
	global_wb scope:SCOPE_SE
	s_wait_dscnt 0x0
	s_barrier_signal -1
	s_barrier_wait -1
	global_inv scope:SCOPE_SE
	ds_load_2addr_b32 v[0:1], v96 offset0:4 offset1:229
	ds_load_2addr_b32 v[2:3], v93 offset0:10 offset1:235
	ds_load_2addr_b32 v[4:5], v105 offset0:6 offset1:231
	ds_load_2addr_b32 v[6:7], v99 offset0:12 offset1:237
	ds_load_2addr_b32 v[8:9], v104 offset0:8 offset1:233
	ds_load_b32 v14, v69 offset:12600
	ds_load_2addr_b32 v[10:11], v69 offset1:225
	ds_load_2addr_b32 v[12:13], v106 offset0:2 offset1:227
	global_wb scope:SCOPE_SE
	s_wait_dscnt 0x0
	s_barrier_signal -1
	s_barrier_wait -1
	global_inv scope:SCOPE_SE
	v_lshrrev_b32_e32 v15, 16, v1
	v_mul_f16_e64 v16, v153, v1
	v_lshrrev_b32_e32 v17, 16, v2
	v_mul_f16_e64 v18, v151, v2
	;; [unrolled: 2-line block ×11, first 2 shown]
	v_fma_f16 v15, v37, v15, -v16
	v_mul_f16_e64 v16, v151, v17
	v_fma_f16 v17, v38, v17, -v18
	v_mul_f16_e64 v18, v152, v19
	;; [unrolled: 2-line block ×6, first 2 shown]
	v_mul_f16_e64 v62, v146, v30
	v_fma_f16 v30, v39, v30, -v31
	v_fma_f16 v28, v40, v28, -v29
	v_lshrrev_b32_e32 v57, 16, v11
	v_lshrrev_b32_e32 v58, 16, v12
	;; [unrolled: 1-line block ×4, first 2 shown]
	v_mul_f16_e64 v29, v145, v32
	v_fma_f16 v31, v33, v32, -v35
	v_mul_f16_e64 v32, v144, v36
	v_fma_f16 v35, v34, v36, -v55
	v_fmac_f16_e32 v61, v37, v1
	v_fmac_f16_e32 v16, v38, v2
	;; [unrolled: 1-line block ×3, first 2 shown]
	v_add_f16_e32 v1, v56, v15
	v_add_f16_e32 v2, v15, v17
	v_sub_f16_e32 v3, v15, v17
	v_add_f16_e32 v15, v30, v28
	v_fmac_f16_e32 v18, v41, v4
	v_fmac_f16_e32 v22, v43, v5
	;; [unrolled: 1-line block ×7, first 2 shown]
	v_add_f16_e32 v4, v57, v19
	v_add_f16_e32 v5, v19, v21
	v_sub_f16_e32 v6, v19, v21
	v_add_f16_e32 v7, v58, v23
	v_add_f16_e32 v8, v23, v26
	v_sub_f16_e32 v9, v23, v26
	v_add_f16_e32 v14, v59, v30
	v_sub_f16_e32 v19, v30, v28
	v_add_f16_e32 v23, v60, v31
	v_add_f16_e32 v30, v31, v35
	v_fmac_f16_e32 v59, -0.5, v15
	v_add_f16_e32 v15, v61, v16
	v_sub_f16_e32 v31, v31, v35
	v_fmac_f16_e32 v56, -0.5, v2
	v_add_f16_e32 v2, v4, v21
	v_add_f16_e32 v4, v7, v26
	;; [unrolled: 1-line block ×3, first 2 shown]
	v_fmac_f16_e32 v60, -0.5, v30
	v_add_f16_e32 v21, v18, v20
	v_add_f16_e32 v23, v12, v22
	v_sub_f16_e32 v26, v22, v25
	v_add_f16_e32 v22, v22, v25
	v_add_f16_e32 v30, v62, v27
	;; [unrolled: 1-line block ×3, first 2 shown]
	v_fmac_f16_e32 v58, -0.5, v8
	v_add_f16_e32 v8, v10, v61
	v_fmac_f16_e32 v57, -0.5, v5
	v_add_f16_e32 v5, v14, v28
	v_sub_f16_e32 v14, v61, v16
	v_fma_f16 v10, -0.5, v15, v10
	v_add_f16_e32 v1, v1, v17
	v_add_f16_e32 v17, v11, v18
	v_sub_f16_e32 v18, v18, v20
	v_add_f16_e32 v28, v13, v62
	v_sub_f16_e32 v33, v62, v27
	;; [unrolled: 2-line block ×3, first 2 shown]
	v_fmac_f16_e32 v11, -0.5, v21
	v_fmac_f16_e32 v13, -0.5, v30
	;; [unrolled: 1-line block ×3, first 2 shown]
	v_fma_f16 v12, -0.5, v22, v12
	v_add_f16_e32 v8, v8, v16
	v_fmamk_f16 v16, v14, 0x3aee, v56
	v_fmamk_f16 v22, v3, 0xbaee, v10
	v_fmac_f16_e32 v56, 0xbaee, v14
	v_fmac_f16_e32 v10, 0x3aee, v3
	v_add_f16_e32 v14, v17, v20
	v_fmamk_f16 v17, v18, 0x3aee, v57
	v_fmac_f16_e32 v57, 0xbaee, v18
	v_add_f16_e32 v18, v23, v25
	v_fmamk_f16 v20, v26, 0x3aee, v58
	;; [unrolled: 3-line block ×4, first 2 shown]
	v_fmac_f16_e32 v60, 0xbaee, v29
	v_fmamk_f16 v3, v6, 0xbaee, v11
	v_fmac_f16_e32 v11, 0x3aee, v6
	v_fmamk_f16 v6, v9, 0xbaee, v12
	v_fmac_f16_e32 v12, 0x3aee, v9
	v_fmamk_f16 v9, v19, 0xbaee, v13
	v_fmac_f16_e32 v13, 0x3aee, v19
	v_fmamk_f16 v19, v31, 0xbaee, v0
	v_fmac_f16_e32 v0, 0x3aee, v31
	v_pack_b32_f16 v1, v8, v1
	v_pack_b32_f16 v8, v22, v16
	v_pack_b32_f16 v10, v10, v56
	v_pack_b32_f16 v2, v14, v2
	v_pack_b32_f16 v4, v18, v4
	v_pack_b32_f16 v5, v21, v5
	v_pack_b32_f16 v7, v25, v7
	v_pack_b32_f16 v3, v3, v17
	v_pack_b32_f16 v11, v11, v57
	v_pack_b32_f16 v6, v6, v20
	v_pack_b32_f16 v12, v12, v58
	v_pack_b32_f16 v9, v9, v23
	v_pack_b32_f16 v13, v13, v59
	v_pack_b32_f16 v14, v19, v15
	v_pack_b32_f16 v0, v0, v60
	ds_store_b32 v69, v1
	ds_store_b32 v69, v8 offset:1500
	ds_store_b32 v69, v10 offset:3000
	ds_store_b32 v139, v2
	ds_store_b32 v139, v3 offset:1500
	ds_store_b32 v139, v11 offset:3000
	;; [unrolled: 1-line block ×5, first 2 shown]
	ds_store_b32 v138, v5
	ds_store_b32 v138, v9 offset:1500
	ds_store_b32 v138, v13 offset:3000
	ds_store_b32 v137, v7 offset:9000
	ds_store_b32 v137, v14 offset:10500
	ds_store_b32 v137, v0 offset:12000
	global_wb scope:SCOPE_SE
	s_wait_dscnt 0x0
	s_barrier_signal -1
	s_barrier_wait -1
	global_inv scope:SCOPE_SE
	ds_load_2addr_b32 v[0:1], v69 offset1:225
	ds_load_2addr_b32 v[2:3], v96 offset0:4 offset1:229
	ds_load_2addr_b32 v[4:5], v93 offset0:10 offset1:235
	;; [unrolled: 1-line block ×6, first 2 shown]
	ds_load_b32 v14, v69 offset:12600
	s_wait_dscnt 0x7
	v_lshrrev_b32_e32 v15, 16, v0
	s_wait_dscnt 0x6
	v_lshrrev_b32_e32 v16, 16, v3
	;; [unrolled: 2-line block ×3, first 2 shown]
	v_mul_f16_e64 v28, v170, v3
	s_wait_dscnt 0x4
	v_lshrrev_b32_e32 v19, 16, v6
	v_lshrrev_b32_e32 v20, 16, v5
	;; [unrolled: 1-line block ×3, first 2 shown]
	s_wait_dscnt 0x2
	v_lshrrev_b32_e32 v23, 16, v10
	v_mul_f16_e64 v31, v167, v4
	v_mul_f16_e64 v32, v168, v6
	v_mul_f16_e64 v33, v160, v5
	v_mul_f16_e64 v34, v161, v7
	s_wait_dscnt 0x1
	v_lshrrev_b32_e32 v26, 16, v12
	v_lshrrev_b32_e32 v27, 16, v11
	;; [unrolled: 1-line block ×3, first 2 shown]
	s_wait_dscnt 0x0
	v_lshrrev_b32_e32 v30, 16, v14
	v_mul_f16_e64 v35, v162, v10
	v_mul_f16_e64 v36, v157, v12
	;; [unrolled: 1-line block ×6, first 2 shown]
	v_fma_f16 v16, v53, v16, -v28
	v_mul_f16_e64 v28, v167, v17
	v_fma_f16 v17, v54, v17, -v31
	v_mul_f16_e64 v31, v168, v19
	;; [unrolled: 2-line block ×5, first 2 shown]
	v_lshrrev_b32_e32 v18, 16, v1
	v_lshrrev_b32_e32 v21, 16, v8
	v_fma_f16 v23, v50, v23, -v35
	v_mul_f16_e64 v35, v157, v26
	v_fma_f16 v26, v47, v26, -v36
	v_mul_f16_e64 v36, v158, v27
	;; [unrolled: 2-line block ×4, first 2 shown]
	v_lshrrev_b32_e32 v25, 16, v9
	v_lshrrev_b32_e32 v40, 16, v2
	v_fma_f16 v30, v46, v30, -v39
	v_fmac_f16_e32 v41, v53, v3
	v_fmac_f16_e32 v28, v54, v4
	;; [unrolled: 1-line block ×6, first 2 shown]
	v_add_f16_e32 v4, v15, v16
	v_add_f16_e32 v5, v16, v17
	v_add_f16_e32 v10, v19, v20
	v_fmac_f16_e32 v35, v47, v12
	v_fmac_f16_e32 v36, v48, v11
	;; [unrolled: 1-line block ×4, first 2 shown]
	v_sub_f16_e32 v6, v19, v20
	v_add_f16_e32 v7, v18, v19
	v_add_f16_e32 v12, v21, v22
	;; [unrolled: 1-line block ×4, first 2 shown]
	v_sub_f16_e32 v3, v16, v17
	v_sub_f16_e32 v11, v22, v23
	;; [unrolled: 1-line block ×3, first 2 shown]
	v_add_f16_e32 v16, v25, v26
	v_sub_f16_e32 v22, v29, v30
	v_add_f16_e32 v26, v40, v29
	v_add_f16_e32 v29, v29, v30
	;; [unrolled: 1-line block ×5, first 2 shown]
	v_fmac_f16_e32 v15, -0.5, v5
	v_sub_f16_e32 v5, v41, v28
	v_add_f16_e32 v17, v1, v31
	v_add_f16_e32 v41, v31, v32
	v_fmac_f16_e32 v18, -0.5, v10
	v_sub_f16_e32 v10, v31, v32
	v_add_f16_e32 v31, v33, v34
	v_add_f16_e32 v7, v7, v20
	;; [unrolled: 1-line block ×4, first 2 shown]
	v_fmac_f16_e32 v21, -0.5, v13
	v_sub_f16_e32 v13, v33, v34
	v_add_f16_e32 v23, v9, v35
	v_add_f16_e32 v33, v35, v36
	v_fmac_f16_e32 v25, -0.5, v19
	v_sub_f16_e32 v19, v35, v36
	v_add_f16_e32 v35, v37, v38
	v_add_f16_e32 v16, v16, v27
	v_add_f16_e32 v27, v2, v37
	v_fmac_f16_e32 v40, -0.5, v29
	v_sub_f16_e32 v29, v37, v38
	v_fma_f16 v0, -0.5, v42, v0
	v_fmac_f16_e32 v1, -0.5, v41
	v_fma_f16 v8, -0.5, v31, v8
	v_fmac_f16_e32 v9, -0.5, v33
	v_fmac_f16_e32 v2, -0.5, v35
	v_add_f16_e32 v26, v26, v30
	v_fmamk_f16 v30, v5, 0x3aee, v15
	v_fmac_f16_e32 v15, 0xbaee, v5
	v_add_f16_e32 v5, v17, v32
	v_fmamk_f16 v17, v10, 0x3aee, v18
	v_fmac_f16_e32 v18, 0xbaee, v10
	;; [unrolled: 3-line block ×5, first 2 shown]
	v_fmamk_f16 v29, v3, 0xbaee, v0
	v_fmac_f16_e32 v0, 0x3aee, v3
	v_add_f16_e32 v28, v39, v28
	v_fmamk_f16 v3, v6, 0xbaee, v1
	v_fmac_f16_e32 v1, 0x3aee, v6
	v_fmamk_f16 v6, v11, 0xbaee, v8
	v_fmac_f16_e32 v8, 0x3aee, v11
	;; [unrolled: 2-line block ×4, first 2 shown]
	v_pack_b32_f16 v5, v5, v7
	v_pack_b32_f16 v7, v10, v12
	;; [unrolled: 1-line block ×15, first 2 shown]
	ds_store_b32 v69, v13 offset:4500
	ds_store_b32 v69, v0 offset:9000
	ds_store_2addr_b32 v69, v4, v5 offset1:225
	ds_store_2addr_b32 v105, v3, v6 offset0:6 offset1:231
	ds_store_2addr_b32 v143, v1, v8 offset0:11 offset1:236
	;; [unrolled: 1-line block ×3, first 2 shown]
	ds_store_b32 v69, v9 offset:11700
	ds_store_b32 v69, v12 offset:3600
	ds_store_2addr_b32 v104, v11, v14 offset0:8 offset1:233
	ds_store_b32 v69, v2 offset:12600
	global_wb scope:SCOPE_SE
	s_wait_dscnt 0x0
	s_barrier_signal -1
	s_barrier_wait -1
	global_inv scope:SCOPE_SE
	ds_load_2addr_b32 v[6:7], v69 offset1:225
	ds_load_2addr_b32 v[2:3], v106 offset0:2 offset1:227
	ds_load_2addr_b32 v[4:5], v105 offset0:6 offset1:231
	v_mad_co_u64_u32 v[18:19], null, s10, v24, 0
	s_wait_dscnt 0x2
	v_lshrrev_b32_e32 v8, 16, v6
	v_mul_f16_e32 v0, v103, v6
	s_wait_dscnt 0x1
	v_lshrrev_b32_e32 v10, 16, v3
	v_mul_f16_e32 v9, v102, v3
	s_wait_dscnt 0x0
	v_lshrrev_b32_e32 v12, 16, v4
	v_mul_f16_e32 v13, v101, v4
	v_fma_f16 v11, v83, v8, -v0
	ds_load_2addr_b32 v[0:1], v104 offset0:8 offset1:233
	v_fma_f16 v9, v85, v10, -v9
	v_mul_f16_e32 v14, v103, v8
	v_fma_f16 v13, v84, v12, -v13
	v_cvt_f32_f16_e32 v11, v11
	v_mul_f16_e32 v16, v101, v12
	v_cvt_f32_f16_e32 v15, v9
	v_fmac_f16_e32 v14, v83, v6
	v_mul_f16_e32 v6, v102, v10
	v_cvt_f64_f32_e32 v[8:9], v11
	v_cvt_f32_f16_e32 v13, v13
	v_cvt_f64_f32_e32 v[10:11], v15
	v_cvt_f32_f16_e32 v14, v14
	v_fmac_f16_e32 v6, v85, v3
	v_fmac_f16_e32 v16, v84, v4
	v_cvt_f64_f32_e32 v[12:13], v13
	s_delay_alu instid0(VALU_DEP_4) | instskip(NEXT) | instid1(VALU_DEP_4)
	v_cvt_f64_f32_e32 v[14:15], v14
	v_cvt_f32_f16_e32 v3, v6
	s_delay_alu instid0(VALU_DEP_4) | instskip(SKIP_2) | instid1(VALU_DEP_3)
	v_cvt_f32_f16_e32 v6, v16
	s_wait_dscnt 0x0
	v_lshrrev_b32_e32 v31, 16, v1
	v_cvt_f64_f32_e32 v[3:4], v3
	s_delay_alu instid0(VALU_DEP_3) | instskip(NEXT) | instid1(VALU_DEP_3)
	v_cvt_f64_f32_e32 v[16:17], v6
	v_mul_f16_e32 v20, v100, v31
	s_delay_alu instid0(VALU_DEP_1) | instskip(SKIP_1) | instid1(VALU_DEP_2)
	v_fmac_f16_e32 v20, v82, v1
	v_mul_f16_e32 v1, v100, v1
	v_cvt_f32_f16_e32 v6, v20
	v_mad_co_u64_u32 v[20:21], null, s8, v81, 0
	s_delay_alu instid0(VALU_DEP_3) | instskip(NEXT) | instid1(VALU_DEP_3)
	v_fma_f16 v1, v82, v31, -v1
	v_cvt_f64_f32_e32 v[22:23], v6
	v_mov_b32_e32 v6, v19
	s_delay_alu instid0(VALU_DEP_3)
	v_cvt_f32_f16_e32 v1, v1
	v_mul_f64_e32 v[25:26], s[12:13], v[8:9]
	v_mov_b32_e32 v8, v21
	v_mul_f64_e32 v[27:28], s[12:13], v[10:11]
	v_mad_co_u64_u32 v[9:10], null, s11, v24, v[6:7]
	s_mul_u64 s[10:11], s[8:9], 0xa8c
	v_mul_f64_e32 v[10:11], s[12:13], v[12:13]
	s_delay_alu instid0(VALU_DEP_2)
	v_mad_co_u64_u32 v[12:13], null, s9, v81, v[8:9]
	v_mul_f64_e32 v[13:14], s[12:13], v[14:15]
	v_mul_f64_e32 v[29:30], s[12:13], v[3:4]
	v_mov_b32_e32 v19, v9
	v_mul_f64_e32 v[15:16], s[12:13], v[16:17]
	v_mov_b32_e32 v21, v12
	s_delay_alu instid0(VALU_DEP_3) | instskip(NEXT) | instid1(VALU_DEP_2)
	v_lshlrev_b64_e32 v[3:4], 2, v[18:19]
	v_lshlrev_b64_e32 v[8:9], 2, v[20:21]
	v_cvt_f64_f32_e32 v[19:20], v1
	s_delay_alu instid0(VALU_DEP_3) | instskip(SKIP_1) | instid1(VALU_DEP_4)
	v_add_co_u32 v3, vcc_lo, s0, v3
	s_wait_alu 0xfffd
	v_add_co_ci_u32_e32 v4, vcc_lo, s1, v4, vcc_lo
	s_delay_alu instid0(VALU_DEP_2) | instskip(SKIP_1) | instid1(VALU_DEP_2)
	v_add_co_u32 v17, vcc_lo, v3, v8
	s_wait_alu 0xfffd
	v_add_co_ci_u32_e32 v18, vcc_lo, v4, v9, vcc_lo
	v_mul_f64_e32 v[8:9], s[12:13], v[22:23]
	ds_load_2addr_b32 v[3:4], v99 offset0:12 offset1:237
	v_and_or_b32 v1, 0x1ff, v26, v25
	v_lshrrev_b32_e32 v6, 8, v26
	v_and_or_b32 v22, 0x1ff, v28, v27
	v_bfe_u32 v12, v26, 20, 11
	v_lshrrev_b32_e32 v23, 8, v28
	v_cmp_ne_u32_e32 vcc_lo, 0, v1
	v_and_or_b32 v10, 0x1ff, v11, v10
	v_bfe_u32 v24, v28, 20, 11
	v_lshrrev_b32_e32 v25, 16, v28
	v_sub_nc_u32_e32 v32, 0x3f1, v12
	s_wait_alu 0xfffd
	v_cndmask_b32_e64 v1, 0, 1, vcc_lo
	v_cmp_ne_u32_e32 vcc_lo, 0, v22
	v_add_nc_u32_e32 v12, 0xfffffc10, v12
	v_and_or_b32 v13, 0x1ff, v14, v13
	v_and_or_b32 v29, 0x1ff, v30, v29
	v_bfe_u32 v31, v14, 20, 11
	s_wait_alu 0xfffd
	v_cndmask_b32_e64 v22, 0, 1, vcc_lo
	v_cmp_ne_u32_e32 vcc_lo, 0, v10
	v_and_or_b32 v15, 0x1ff, v16, v15
	v_and_or_b32 v1, 0xffe, v6, v1
	v_lshrrev_b32_e32 v28, 8, v14
	v_bfe_u32 v34, v30, 20, 11
	s_wait_alu 0xfffd
	v_cndmask_b32_e64 v10, 0, 1, vcc_lo
	v_cmp_ne_u32_e32 vcc_lo, 0, v13
	v_sub_nc_u32_e32 v39, 0x3f1, v31
	v_and_or_b32 v22, 0xffe, v23, v22
	v_lshrrev_b32_e32 v21, 16, v26
	v_lshrrev_b32_e32 v26, 8, v11
	s_wait_alu 0xfffd
	v_cndmask_b32_e64 v13, 0, 1, vcc_lo
	v_cmp_ne_u32_e32 vcc_lo, 0, v29
	v_lshrrev_b32_e32 v33, 8, v30
	v_sub_nc_u32_e32 v35, 0x3f1, v24
	v_add_nc_u32_e32 v24, 0xfffffc10, v24
	v_bfe_u32 v37, v16, 20, 11
	s_wait_alu 0xfffd
	v_cndmask_b32_e64 v6, 0, 1, vcc_lo
	v_cmp_ne_u32_e32 vcc_lo, 0, v15
	v_med3_i32 v32, v32, 0, 13
	v_sub_nc_u32_e32 v40, 0x3f1, v34
	v_med3_i32 v23, v39, 0, 13
	v_and_or_b32 v13, 0xffe, v28, v13
	s_wait_alu 0xfffd
	v_cndmask_b32_e64 v15, 0, 1, vcc_lo
	v_cmp_ne_u32_e32 vcc_lo, 0, v1
	v_or_b32_e32 v28, 0x1000, v1
	v_lshl_or_b32 v39, v12, 12, v1
	v_add_nc_u32_e32 v31, 0xfffffc10, v31
	v_med3_i32 v35, v35, 0, 13
	s_wait_alu 0xfffd
	v_cndmask_b32_e64 v1, 0, 1, vcc_lo
	v_cmp_ne_u32_e32 vcc_lo, 0, v22
	v_sub_nc_u32_e32 v41, 0x3f1, v37
	v_and_or_b32 v10, 0xffe, v26, v10
	v_med3_i32 v26, v40, 0, 13
	v_and_or_b32 v6, 0xffe, v33, v6
	v_or_b32_e32 v33, 0x1000, v22
	v_lshl_or_b32 v40, v24, 12, v22
	s_wait_alu 0xfffd
	v_cndmask_b32_e64 v22, 0, 1, vcc_lo
	v_lshrrev_b32_e32 v43, v32, v28
	v_cmp_ne_u32_e32 vcc_lo, 0, v13
	v_lshrrev_b32_e32 v36, 8, v16
	v_add_nc_u32_e32 v34, 0xfffffc10, v34
	v_med3_i32 v29, v41, 0, 13
	v_or_b32_e32 v41, 0x1000, v13
	v_lshl_or_b32 v42, v31, 12, v13
	v_lshrrev_b32_e32 v46, v35, v33
	s_wait_alu 0xfffd
	v_cndmask_b32_e64 v13, 0, 1, vcc_lo
	v_cmp_ne_u32_e32 vcc_lo, 0, v6
	v_lshlrev_b32_e32 v32, v32, v43
	v_and_or_b32 v15, 0xffe, v36, v15
	v_or_b32_e32 v44, 0x1000, v6
	v_lshl_or_b32 v45, v34, 12, v6
	s_wait_alu 0xfffd
	v_cndmask_b32_e64 v6, 0, 1, vcc_lo
	v_lshrrev_b32_e32 v50, v23, v41
	v_lshlrev_b32_e32 v35, v35, v46
	v_cmp_ne_u32_e32 vcc_lo, v32, v28
	v_or_b32_e32 v47, 0x1000, v15
	v_lshrrev_b32_e32 v51, v26, v44
	v_lshlrev_b32_e32 v23, v23, v50
	v_lshl_or_b32 v13, v13, 9, 0x7c00
	s_wait_alu 0xfffd
	v_cndmask_b32_e64 v28, 0, 1, vcc_lo
	v_cmp_ne_u32_e32 vcc_lo, v35, v33
	v_lshrrev_b32_e32 v52, v29, v47
	v_lshlrev_b32_e32 v26, v26, v51
	v_add_nc_u32_e32 v37, 0xfffffc10, v37
	v_or_b32_e32 v28, v43, v28
	s_wait_alu 0xfffd
	v_cndmask_b32_e64 v32, 0, 1, vcc_lo
	v_cmp_ne_u32_e32 vcc_lo, v23, v41
	v_lshlrev_b32_e32 v29, v29, v52
	v_lshl_or_b32 v6, v6, 9, 0x7c00
	v_bfe_u32 v27, v11, 20, 11
	v_or_b32_e32 v32, v46, v32
	s_wait_alu 0xfffd
	v_cndmask_b32_e64 v23, 0, 1, vcc_lo
	v_cmp_ne_u32_e32 vcc_lo, v26, v44
	v_lshl_or_b32 v48, v37, 12, v15
	v_sub_nc_u32_e32 v38, 0x3f1, v27
	v_lshrrev_b32_e32 v14, 16, v14
	v_or_b32_e32 v23, v50, v23
	s_wait_alu 0xfffd
	v_cndmask_b32_e64 v26, 0, 1, vcc_lo
	v_cmp_ne_u32_e32 vcc_lo, v29, v47
	v_lshl_or_b32 v1, v1, 9, 0x7c00
	v_med3_i32 v38, v38, 0, 13
	v_or_b32_e32 v36, 0x1000, v10
	v_or_b32_e32 v26, v51, v26
	s_wait_alu 0xfffd
	v_cndmask_b32_e64 v29, 0, 1, vcc_lo
	v_cmp_gt_i32_e32 vcc_lo, 1, v12
	v_lshl_or_b32 v22, v22, 9, 0x7c00
	v_lshrrev_b32_e32 v49, v38, v36
	v_lshrrev_b32_e32 v30, 16, v30
	v_or_b32_e32 v29, v52, v29
	s_wait_alu 0xfffd
	v_cndmask_b32_e32 v28, v39, v28, vcc_lo
	v_cmp_gt_i32_e32 vcc_lo, 1, v24
	v_lshlrev_b32_e32 v38, v38, v49
	v_and_or_b32 v8, 0x1ff, v9, v8
	v_lshrrev_b32_e32 v16, 16, v16
	v_and_b32_e32 v33, 7, v28
	s_wait_alu 0xfffd
	v_cndmask_b32_e32 v32, v40, v32, vcc_lo
	v_cmp_gt_i32_e32 vcc_lo, 1, v31
	v_lshrrev_b32_e32 v28, 2, v28
	v_cmp_eq_u32_e64 s0, 3, v33
	s_delay_alu instid0(VALU_DEP_4)
	v_and_b32_e32 v35, 7, v32
	s_wait_alu 0xfffd
	v_cndmask_b32_e32 v23, v42, v23, vcc_lo
	v_cmp_gt_i32_e32 vcc_lo, 1, v34
	v_lshrrev_b32_e32 v32, 2, v32
	v_cmp_lt_i32_e64 s1, 5, v35
	s_wait_alu 0xfffd
	v_dual_cndmask_b32 v26, v45, v26 :: v_dual_and_b32 v39, 7, v23
	v_cmp_lt_i32_e32 vcc_lo, 5, v33
	v_cmp_eq_u32_e64 s4, 3, v35
	v_lshrrev_b32_e32 v23, 2, v23
	s_delay_alu instid0(VALU_DEP_4)
	v_cmp_lt_i32_e64 s2, 5, v39
	v_and_b32_e32 v33, 7, v26
	v_cmp_eq_u32_e64 s3, 3, v39
	s_or_b32 vcc_lo, s0, vcc_lo
	v_lshrrev_b32_e32 v26, 2, v26
	s_wait_alu 0xfffe
	v_add_co_ci_u32_e32 v28, vcc_lo, 0, v28, vcc_lo
	s_or_b32 vcc_lo, s4, s1
	v_cmp_lt_i32_e64 s5, 5, v33
	v_cmp_eq_u32_e64 s6, 3, v33
	s_or_b32 s2, s3, s2
	s_wait_alu 0xfffe
	v_add_co_ci_u32_e32 v32, vcc_lo, 0, v32, vcc_lo
	v_add_co_ci_u32_e64 v23, s2, 0, v23, s2
	v_cmp_gt_i32_e32 vcc_lo, 31, v31
	s_or_b32 s2, s6, s5
	v_cmp_ne_u32_e64 s1, v38, v36
	s_wait_alu 0xfffe
	v_add_co_ci_u32_e64 v26, s2, 0, v26, s2
	s_wait_alu 0xfffd
	v_cndmask_b32_e32 v23, 0x7c00, v23, vcc_lo
	v_cmp_gt_i32_e32 vcc_lo, 31, v34
	s_wait_alu 0xfffd
	v_cndmask_b32_e32 v26, 0x7c00, v26, vcc_lo
	v_cmp_gt_i32_e32 vcc_lo, 31, v12
	;; [unrolled: 3-line block ×3, first 2 shown]
	s_wait_alu 0xfffd
	v_cndmask_b32_e32 v32, 0x7c00, v32, vcc_lo
	v_cmp_eq_u32_e32 vcc_lo, 0x40f, v31
	s_wait_alu 0xfffd
	v_cndmask_b32_e32 v13, v23, v13, vcc_lo
	v_cmp_eq_u32_e32 vcc_lo, 0x40f, v34
	s_wait_alu 0xfffd
	v_cndmask_b32_e32 v6, v26, v6, vcc_lo
	v_cmp_gt_i32_e32 vcc_lo, 1, v37
	s_delay_alu instid0(VALU_DEP_2)
	v_and_or_b32 v6, 0x8000, v30, v6
	s_wait_alu 0xfffd
	v_cndmask_b32_e32 v23, v48, v29, vcc_lo
	v_cmp_eq_u32_e32 vcc_lo, 0x40f, v12
	v_and_or_b32 v12, 0x8000, v14, v13
	v_and_b32_e32 v6, 0xffff, v6
	s_wait_alu 0xfffd
	v_dual_cndmask_b32 v1, v28, v1 :: v_dual_and_b32 v14, 7, v23
	v_cmp_eq_u32_e32 vcc_lo, 0x40f, v24
	v_and_b32_e32 v12, 0xffff, v12
	s_delay_alu instid0(VALU_DEP_3) | instskip(NEXT) | instid1(VALU_DEP_4)
	v_cmp_eq_u32_e64 s0, 3, v14
	v_and_or_b32 v1, 0x8000, v21, v1
	s_wait_alu 0xfffd
	v_cndmask_b32_e32 v13, v32, v22, vcc_lo
	s_wait_dscnt 0x0
	v_lshrrev_b32_e32 v21, 16, v3
	v_cmp_lt_i32_e32 vcc_lo, 5, v14
	s_wait_alu 0xf1ff
	v_cndmask_b32_e64 v14, 0, 1, s1
	v_lshl_or_b32 v1, v1, 16, v12
	v_and_or_b32 v22, 0x8000, v25, v13
	v_mul_f64_e32 v[12:13], s[12:13], v[19:20]
	v_lshrrev_b32_e32 v19, 2, v23
	v_mul_f16_e32 v24, v98, v21
	s_or_b32 vcc_lo, s0, vcc_lo
	v_add_nc_u32_e32 v25, 0xfffffc10, v27
	v_or_b32_e32 v14, v49, v14
	s_wait_alu 0xfffe
	v_add_co_ci_u32_e32 v19, vcc_lo, 0, v19, vcc_lo
	v_fmac_f16_e32 v24, v80, v3
	v_cmp_ne_u32_e32 vcc_lo, 0, v15
	v_lshl_or_b32 v20, v25, 12, v10
	v_lshl_or_b32 v6, v22, 16, v6
	v_cmp_ne_u32_e64 s0, 0, v8
	v_cvt_f32_f16_e32 v23, v24
	s_wait_alu 0xfffd
	v_cndmask_b32_e64 v24, 0, 1, vcc_lo
	v_cmp_gt_i32_e32 vcc_lo, 1, v25
	v_mul_f16_e32 v3, v98, v3
	s_wait_alu 0xf1ff
	v_cndmask_b32_e64 v8, 0, 1, s0
	global_store_b32 v[17:18], v1, off
	v_lshrrev_b32_e32 v1, 16, v7
	s_wait_alu 0xfffd
	v_cndmask_b32_e32 v20, v20, v14, vcc_lo
	v_cvt_f64_f32_e32 v[14:15], v23
	v_cmp_gt_i32_e32 vcc_lo, 31, v37
	v_lshl_or_b32 v23, v24, 9, 0x7c00
	v_bfe_u32 v24, v9, 20, 11
	v_and_b32_e32 v22, 7, v20
	v_fma_f16 v3, v80, v21, -v3
	s_wait_alu 0xfffd
	v_cndmask_b32_e32 v19, 0x7c00, v19, vcc_lo
	v_cmp_eq_u32_e32 vcc_lo, 0x40f, v37
	v_cmp_eq_u32_e64 s0, 3, v22
	v_cvt_f32_f16_e32 v3, v3
	s_wait_alu 0xfffd
	v_cndmask_b32_e32 v19, v19, v23, vcc_lo
	v_cmp_lt_i32_e32 vcc_lo, 5, v22
	v_lshrrev_b32_e32 v23, 8, v9
	v_lshrrev_b32_e32 v9, 16, v9
	s_delay_alu instid0(VALU_DEP_4) | instskip(SKIP_1) | instid1(VALU_DEP_4)
	v_and_or_b32 v16, 0x8000, v16, v19
	v_lshrrev_b32_e32 v19, 2, v20
	v_and_or_b32 v8, 0xffe, v23, v8
	v_sub_nc_u32_e32 v20, 0x3f1, v24
	s_or_b32 vcc_lo, s0, vcc_lo
	v_and_or_b32 v12, 0x1ff, v13, v12
	s_wait_alu 0xfffe
	v_add_co_ci_u32_e32 v19, vcc_lo, 0, v19, vcc_lo
	v_cmp_ne_u32_e32 vcc_lo, 0, v10
	v_or_b32_e32 v22, 0x1000, v8
	v_med3_i32 v20, v20, 0, 13
	v_lshrrev_b32_e32 v27, 8, v13
	v_and_b32_e32 v16, 0xffff, v16
	s_wait_alu 0xfffd
	v_cndmask_b32_e64 v10, 0, 1, vcc_lo
	v_cmp_gt_i32_e32 vcc_lo, 31, v25
	v_lshrrev_b32_e32 v23, v20, v22
	s_delay_alu instid0(VALU_DEP_3)
	v_lshl_or_b32 v10, v10, 9, 0x7c00
	s_wait_alu 0xfffd
	v_cndmask_b32_e32 v21, 0x7c00, v19, vcc_lo
	v_cmp_ne_u32_e32 vcc_lo, 0, v12
	v_lshlrev_b32_e32 v26, v20, v23
	v_cvt_f64_f32_e32 v[19:20], v3
	v_mul_f64_e32 v[14:15], s[12:13], v[14:15]
	v_bfe_u32 v3, v13, 20, 11
	s_wait_alu 0xfffd
	v_cndmask_b32_e64 v12, 0, 1, vcc_lo
	v_cmp_eq_u32_e32 vcc_lo, 0x40f, v25
	v_lshrrev_b32_e32 v25, 16, v11
	s_delay_alu instid0(VALU_DEP_3)
	v_and_or_b32 v12, 0xffe, v27, v12
	s_wait_alu 0xfffd
	v_cndmask_b32_e32 v21, v21, v10, vcc_lo
	v_cmp_ne_u32_e32 vcc_lo, v26, v22
	v_add_nc_u32_e32 v22, 0xfffffc10, v24
	v_sub_nc_u32_e32 v24, 0x3f1, v3
	v_or_b32_e32 v27, 0x1000, v12
	v_and_or_b32 v21, 0x8000, v25, v21
	s_wait_alu 0xfffd
	v_cndmask_b32_e64 v10, 0, 1, vcc_lo
	v_lshl_or_b32 v26, v22, 12, v8
	v_med3_i32 v24, v24, 0, 13
	v_add_nc_u32_e32 v3, 0xfffffc10, v3
	s_delay_alu instid0(VALU_DEP_4)
	v_or_b32_e32 v23, v23, v10
	v_add_co_u32 v10, vcc_lo, v17, s10
	s_wait_alu 0xfffd
	v_add_co_ci_u32_e32 v11, vcc_lo, s11, v18, vcc_lo
	v_cmp_gt_i32_e32 vcc_lo, 1, v22
	v_lshrrev_b32_e32 v25, v24, v27
	v_mul_f16_e32 v18, v97, v1
	global_store_b32 v[10:11], v6, off
	s_wait_alu 0xfffd
	v_cndmask_b32_e32 v23, v26, v23, vcc_lo
	v_lshl_or_b32 v26, v21, 16, v16
	v_lshlrev_b32_e32 v16, v24, v25
	v_add_co_u32 v10, vcc_lo, v10, s10
	s_delay_alu instid0(VALU_DEP_4) | instskip(SKIP_1) | instid1(VALU_DEP_4)
	v_and_b32_e32 v6, 7, v23
	v_fmac_f16_e32 v18, v79, v7
	v_cmp_ne_u32_e64 s1, v16, v27
	s_wait_alu 0xfffd
	v_add_co_ci_u32_e32 v11, vcc_lo, s11, v11, vcc_lo
	v_cmp_lt_i32_e32 vcc_lo, 5, v6
	v_cmp_eq_u32_e64 s0, 3, v6
	v_mul_f64_e32 v[16:17], s[12:13], v[19:20]
	v_lshrrev_b32_e32 v20, 2, v23
	s_wait_alu 0xf1ff
	v_cndmask_b32_e64 v6, 0, 1, s1
	v_cvt_f32_f16_e32 v18, v18
	v_and_or_b32 v14, 0x1ff, v15, v14
	s_or_b32 vcc_lo, s0, vcc_lo
	v_lshl_or_b32 v21, v3, 12, v12
	s_wait_alu 0xfffe
	v_add_co_ci_u32_e32 v20, vcc_lo, 0, v20, vcc_lo
	v_or_b32_e32 v6, v25, v6
	v_cvt_f64_f32_e32 v[18:19], v18
	v_cmp_ne_u32_e64 s1, 0, v14
	v_cmp_gt_i32_e32 vcc_lo, 1, v3
	v_lshrrev_b32_e32 v23, 8, v15
	v_bfe_u32 v24, v15, 20, 11
	v_mul_f16_e32 v7, v97, v7
	s_wait_alu 0xf1ff
	v_cndmask_b32_e64 v14, 0, 1, s1
	s_wait_alu 0xfffd
	v_cndmask_b32_e32 v6, v21, v6, vcc_lo
	v_cmp_ne_u32_e32 vcc_lo, 0, v8
	v_sub_nc_u32_e32 v21, 0x3f1, v24
	v_fma_f16 v1, v79, v1, -v7
	v_and_or_b32 v14, 0xffe, v23, v14
	v_and_b32_e32 v23, 7, v6
	s_wait_alu 0xfffd
	v_cndmask_b32_e64 v8, 0, 1, vcc_lo
	v_cmp_gt_i32_e32 vcc_lo, 31, v22
	v_lshrrev_b32_e32 v6, 2, v6
	v_or_b32_e32 v25, 0x1000, v14
	v_cmp_eq_u32_e64 s0, 3, v23
	v_med3_i32 v21, v21, 0, 13
	s_wait_alu 0xfffd
	v_cndmask_b32_e32 v27, 0x7c00, v20, vcc_lo
	v_cmp_lt_i32_e32 vcc_lo, 5, v23
	v_lshl_or_b32 v7, v8, 9, 0x7c00
	v_cvt_f32_f16_e32 v1, v1
	v_lshrrev_b32_e32 v28, v21, v25
	global_store_b32 v[10:11], v26, off
	s_or_b32 vcc_lo, s0, vcc_lo
	s_wait_alu 0xfffe
	v_add_co_ci_u32_e32 v6, vcc_lo, 0, v6, vcc_lo
	v_cmp_eq_u32_e32 vcc_lo, 0x40f, v22
	v_lshlrev_b32_e32 v8, v21, v28
	v_cvt_f64_f32_e32 v[20:21], v1
	v_and_or_b32 v16, 0x1ff, v17, v16
	s_wait_alu 0xfffd
	v_dual_cndmask_b32 v1, v27, v7 :: v_dual_add_nc_u32 v22, 0xfffffc10, v24
	v_cmp_gt_i32_e32 vcc_lo, 31, v3
	v_bfe_u32 v23, v17, 20, 11
	v_mul_f64_e32 v[18:19], s[12:13], v[18:19]
	s_delay_alu instid0(VALU_DEP_4)
	v_lshl_or_b32 v24, v22, 12, v14
	s_wait_alu 0xfffd
	v_cndmask_b32_e32 v6, 0x7c00, v6, vcc_lo
	v_cmp_ne_u32_e32 vcc_lo, v8, v25
	v_and_or_b32 v1, 0x8000, v9, v1
	s_wait_alu 0xfffd
	v_cndmask_b32_e64 v7, 0, 1, vcc_lo
	v_cmp_ne_u32_e32 vcc_lo, 0, v12
	s_delay_alu instid0(VALU_DEP_3) | instskip(NEXT) | instid1(VALU_DEP_3)
	v_and_b32_e32 v1, 0xffff, v1
	v_or_b32_e32 v7, v28, v7
	s_wait_alu 0xfffd
	v_cndmask_b32_e64 v8, 0, 1, vcc_lo
	v_cmp_ne_u32_e32 vcc_lo, 0, v16
	v_lshrrev_b32_e32 v16, 8, v17
	s_delay_alu instid0(VALU_DEP_3) | instskip(SKIP_3) | instid1(VALU_DEP_2)
	v_lshl_or_b32 v8, v8, 9, 0x7c00
	s_wait_alu 0xfffd
	v_cndmask_b32_e64 v12, 0, 1, vcc_lo
	v_cmp_gt_i32_e32 vcc_lo, 1, v22
	v_and_or_b32 v16, 0xffe, v16, v12
	v_sub_nc_u32_e32 v12, 0x3f1, v23
	s_wait_alu 0xfffd
	v_cndmask_b32_e32 v24, v24, v7, vcc_lo
	v_cmp_eq_u32_e32 vcc_lo, 0x40f, v3
	v_add_nc_u32_e32 v23, 0xfffffc10, v23
	v_or_b32_e32 v25, 0x1000, v16
	v_med3_i32 v12, v12, 0, 13
	v_and_b32_e32 v9, 7, v24
	s_wait_alu 0xfffd
	v_cndmask_b32_e32 v3, v6, v8, vcc_lo
	v_lshrrev_b32_e32 v8, 16, v13
	ds_load_2addr_b32 v[6:7], v96 offset0:4 offset1:229
	v_lshrrev_b32_e32 v13, v12, v25
	v_cmp_lt_i32_e32 vcc_lo, 5, v9
	v_cmp_eq_u32_e64 s0, 3, v9
	v_and_or_b32 v3, 0x8000, v8, v3
	v_mul_f64_e32 v[8:9], s[12:13], v[20:21]
	v_lshrrev_b32_e32 v24, 2, v24
	v_lshlrev_b32_e32 v12, v12, v13
	s_or_b32 vcc_lo, s0, vcc_lo
	v_lshl_or_b32 v1, v3, 16, v1
	v_and_or_b32 v18, 0x1ff, v19, v18
	s_wait_alu 0xfffe
	v_add_co_ci_u32_e32 v3, vcc_lo, 0, v24, vcc_lo
	v_cmp_ne_u32_e32 vcc_lo, v12, v25
	v_lshrrev_b32_e32 v24, 8, v19
	v_bfe_u32 v25, v19, 20, 11
	v_lshrrev_b32_e32 v19, 16, v19
	s_wait_alu 0xfffd
	v_cndmask_b32_e64 v12, 0, 1, vcc_lo
	v_add_co_u32 v10, vcc_lo, v10, s10
	s_wait_alu 0xfffd
	v_add_co_ci_u32_e32 v11, vcc_lo, s11, v11, vcc_lo
	s_wait_dscnt 0x0
	v_lshrrev_b32_e32 v20, 16, v6
	v_cmp_ne_u32_e32 vcc_lo, 0, v18
	v_or_b32_e32 v12, v13, v12
	v_lshl_or_b32 v13, v23, 12, v16
	global_store_b32 v[10:11], v1, off
	v_mul_f16_e32 v21, v95, v20
	s_wait_alu 0xfffd
	v_cndmask_b32_e64 v18, 0, 1, vcc_lo
	v_cmp_gt_i32_e32 vcc_lo, 1, v23
	v_lshrrev_b32_e32 v1, 16, v5
	v_fmac_f16_e32 v21, v78, v6
	s_delay_alu instid0(VALU_DEP_4)
	v_and_or_b32 v18, 0xffe, v24, v18
	s_wait_alu 0xfffd
	v_cndmask_b32_e32 v26, v13, v12, vcc_lo
	v_cmp_ne_u32_e32 vcc_lo, 0, v14
	v_sub_nc_u32_e32 v12, 0x3f1, v25
	v_cvt_f32_f16_e32 v13, v21
	v_or_b32_e32 v24, 0x1000, v18
	v_and_b32_e32 v21, 7, v26
	s_wait_alu 0xfffd
	v_cndmask_b32_e64 v14, 0, 1, vcc_lo
	v_cmp_gt_i32_e32 vcc_lo, 31, v22
	v_med3_i32 v27, v12, 0, 13
	v_and_or_b32 v8, 0x1ff, v9, v8
	v_cmp_eq_u32_e64 s0, 3, v21
	v_mul_f16_e32 v6, v95, v6
	s_wait_alu 0xfffd
	v_cndmask_b32_e32 v3, 0x7c00, v3, vcc_lo
	v_cmp_lt_i32_e32 vcc_lo, 5, v21
	v_lshrrev_b32_e32 v28, v27, v24
	v_lshrrev_b32_e32 v21, 2, v26
	v_cvt_f64_f32_e32 v[12:13], v13
	v_fma_f16 v6, v78, v20, -v6
	s_or_b32 vcc_lo, s0, vcc_lo
	v_lshlrev_b32_e32 v26, v27, v28
	s_wait_alu 0xfffe
	v_add_co_ci_u32_e32 v27, vcc_lo, 0, v21, vcc_lo
	v_cmp_ne_u32_e32 vcc_lo, 0, v8
	v_lshl_or_b32 v14, v14, 9, 0x7c00
	v_lshrrev_b32_e32 v20, 8, v9
	v_cvt_f32_f16_e32 v6, v6
	v_bfe_u32 v29, v9, 20, 11
	s_wait_alu 0xfffd
	v_cndmask_b32_e64 v8, 0, 1, vcc_lo
	v_cmp_ne_u32_e32 vcc_lo, v26, v24
	s_delay_alu instid0(VALU_DEP_3) | instskip(NEXT) | instid1(VALU_DEP_3)
	v_sub_nc_u32_e32 v26, 0x3f1, v29
	v_and_or_b32 v8, 0xffe, v20, v8
	s_wait_alu 0xfffd
	v_cndmask_b32_e64 v24, 0, 1, vcc_lo
	v_cmp_ne_u32_e32 vcc_lo, 0, v16
	v_cvt_f64_f32_e32 v[20:21], v6
	v_add_nc_u32_e32 v6, 0xfffffc10, v25
	v_or_b32_e32 v25, 0x1000, v8
	v_or_b32_e32 v24, v28, v24
	s_wait_alu 0xfffd
	v_cndmask_b32_e64 v16, 0, 1, vcc_lo
	v_cmp_eq_u32_e32 vcc_lo, 0x40f, v22
	v_lshl_or_b32 v28, v6, 12, v18
	v_med3_i32 v26, v26, 0, 13
	s_delay_alu instid0(VALU_DEP_4)
	v_lshl_or_b32 v16, v16, 9, 0x7c00
	s_wait_alu 0xfffd
	v_cndmask_b32_e32 v3, v3, v14, vcc_lo
	v_cmp_gt_i32_e32 vcc_lo, 31, v23
	v_lshrrev_b32_e32 v22, v26, v25
	s_wait_alu 0xfffd
	v_cndmask_b32_e32 v14, 0x7c00, v27, vcc_lo
	v_cmp_gt_i32_e32 vcc_lo, 1, v6
	v_lshrrev_b32_e32 v27, 16, v15
	v_lshlrev_b32_e32 v26, v26, v22
	v_mul_f64_e32 v[12:13], s[12:13], v[12:13]
	s_wait_alu 0xfffd
	v_cndmask_b32_e32 v24, v28, v24, vcc_lo
	v_cmp_eq_u32_e32 vcc_lo, 0x40f, v23
	v_cmp_ne_u32_e64 s1, v26, v25
	v_lshrrev_b32_e32 v28, 16, v17
	v_and_or_b32 v3, 0x8000, v27, v3
	v_and_b32_e32 v15, 7, v24
	s_wait_alu 0xfffd
	v_cndmask_b32_e32 v23, v14, v16, vcc_lo
	v_lshrrev_b32_e32 v14, 2, v24
	v_add_nc_u32_e32 v24, 0xfffffc10, v29
	v_mul_f16_e32 v16, v94, v1
	v_cmp_lt_i32_e32 vcc_lo, 5, v15
	v_cmp_eq_u32_e64 s0, 3, v15
	s_wait_alu 0xf1ff
	v_cndmask_b32_e64 v15, 0, 1, s1
	v_lshl_or_b32 v25, v24, 12, v8
	v_fmac_f16_e32 v16, v77, v5
	v_cmp_eq_u32_e64 s1, 0x40f, v6
	s_or_b32 vcc_lo, s0, vcc_lo
	v_or_b32_e32 v22, v22, v15
	s_wait_alu 0xfffe
	v_add_co_ci_u32_e32 v17, vcc_lo, 0, v14, vcc_lo
	v_cmp_ne_u32_e32 vcc_lo, 0, v18
	v_mul_f64_e32 v[14:15], s[12:13], v[20:21]
	v_cvt_f32_f16_e32 v16, v16
	v_mul_f16_e32 v5, v94, v5
	v_and_or_b32 v23, 0x8000, v28, v23
	s_wait_alu 0xfffd
	v_cndmask_b32_e64 v18, 0, 1, vcc_lo
	v_cmp_gt_i32_e32 vcc_lo, 1, v24
	v_and_b32_e32 v3, 0xffff, v3
	v_fma_f16 v1, v77, v1, -v5
	s_delay_alu instid0(VALU_DEP_4)
	v_lshl_or_b32 v18, v18, 9, 0x7c00
	s_wait_alu 0xfffd
	v_cndmask_b32_e32 v20, v25, v22, vcc_lo
	v_cmp_gt_i32_e32 vcc_lo, 31, v6
	v_cvt_f32_f16_e32 v1, v1
	v_lshl_or_b32 v3, v23, 16, v3
	s_wait_alu 0xfffd
	v_dual_cndmask_b32 v21, 0x7c00, v17 :: v_dual_and_b32 v22, 7, v20
	v_cvt_f64_f32_e32 v[16:17], v16
	v_and_or_b32 v12, 0x1ff, v13, v12
	s_delay_alu instid0(VALU_DEP_3)
	v_cmp_lt_i32_e32 vcc_lo, 5, v22
	v_cmp_eq_u32_e64 s0, 3, v22
	v_cndmask_b32_e64 v6, v21, v18, s1
	v_lshrrev_b32_e32 v18, 2, v20
	v_bfe_u32 v21, v13, 20, 11
	v_lshrrev_b32_e32 v20, 8, v13
	s_or_b32 vcc_lo, s0, vcc_lo
	v_and_or_b32 v19, 0x8000, v19, v6
	s_wait_alu 0xfffe
	v_add_co_ci_u32_e32 v18, vcc_lo, 0, v18, vcc_lo
	v_cmp_ne_u32_e32 vcc_lo, 0, v8
	v_sub_nc_u32_e32 v5, 0x3f1, v21
	v_add_nc_u32_e32 v27, 0xfffffc10, v21
	v_and_b32_e32 v19, 0xffff, v19
	s_mul_i32 s0, s9, 0xffffd954
	s_wait_alu 0xfffd
	v_cndmask_b32_e64 v8, 0, 1, vcc_lo
	v_cmp_ne_u32_e32 vcc_lo, 0, v12
	v_med3_i32 v22, v5, 0, 13
	v_and_or_b32 v14, 0x1ff, v15, v14
	ds_load_2addr_b32 v[5:6], v93 offset0:10 offset1:235
	v_lshl_or_b32 v8, v8, 9, 0x7c00
	s_wait_alu 0xfffd
	v_cndmask_b32_e64 v12, 0, 1, vcc_lo
	v_cmp_gt_i32_e32 vcc_lo, 31, v24
	v_bfe_u32 v25, v15, 20, 11
	s_wait_alu 0xfffe
	s_sub_co_i32 s2, s0, s8
	v_lshrrev_b32_e32 v13, 16, v13
	v_and_or_b32 v12, 0xffe, v20, v12
	s_wait_alu 0xfffd
	v_cndmask_b32_e32 v18, 0x7c00, v18, vcc_lo
	v_cmp_eq_u32_e32 vcc_lo, 0x40f, v24
	v_lshrrev_b32_e32 v24, 16, v9
	v_or_b32_e32 v20, 0x1000, v12
	v_cmp_ne_u32_e64 s1, 0, v12
	s_wait_alu 0xfffd
	v_cndmask_b32_e32 v18, v18, v8, vcc_lo
	v_cvt_f64_f32_e32 v[8:9], v1
	v_mul_f64_e32 v[16:17], s[12:13], v[16:17]
	v_cmp_ne_u32_e32 vcc_lo, 0, v14
	v_lshrrev_b32_e32 v14, 8, v15
	v_lshrrev_b32_e32 v23, v22, v20
	v_and_or_b32 v18, 0x8000, v24, v18
	s_wait_alu 0xfffd
	v_cndmask_b32_e64 v1, 0, 1, vcc_lo
	v_add_co_u32 v10, vcc_lo, v10, s10
	v_lshlrev_b32_e32 v22, v22, v23
	s_wait_alu 0xfffd
	v_add_co_ci_u32_e32 v11, vcc_lo, s11, v11, vcc_lo
	v_and_or_b32 v1, 0xffe, v14, v1
	v_sub_nc_u32_e32 v14, 0x3f1, v25
	v_cmp_ne_u32_e32 vcc_lo, v22, v20
	s_wait_dscnt 0x0
	v_lshrrev_b32_e32 v22, 16, v5
	global_store_b32 v[10:11], v3, off
	v_or_b32_e32 v24, 0x1000, v1
	v_med3_i32 v14, v14, 0, 13
	s_wait_alu 0xfffd
	v_cndmask_b32_e64 v20, 0, 1, vcc_lo
	v_mul_f16_e32 v21, v92, v22
	v_cmp_gt_i32_e32 vcc_lo, 1, v27
	v_lshl_or_b32 v26, v18, 16, v19
	v_lshrrev_b32_e32 v28, v14, v24
	v_or_b32_e32 v20, v23, v20
	v_lshl_or_b32 v23, v27, 12, v12
	v_fmac_f16_e32 v21, v76, v5
	v_mad_co_u64_u32 v[18:19], null, 0xffffd954, s8, v[10:11]
	v_lshlrev_b32_e32 v14, v14, v28
	s_wait_alu 0xfffd
	v_cndmask_b32_e32 v23, v23, v20, vcc_lo
	v_cvt_f32_f16_e32 v20, v21
	v_mul_f16_e32 v5, v92, v5
	s_wait_alu 0xf1ff
	v_cndmask_b32_e64 v12, 0, 1, s1
	v_cmp_ne_u32_e32 vcc_lo, v14, v24
	v_add_nc_u32_e32 v24, 0xfffffc10, v25
	v_cvt_f64_f32_e32 v[20:21], v20
	v_mul_f64_e32 v[8:9], s[12:13], v[8:9]
	v_and_or_b32 v3, 0x1ff, v17, v16
	s_wait_alu 0xfffd
	v_cndmask_b32_e64 v14, 0, 1, vcc_lo
	v_cmp_gt_i32_e64 s0, 1, v24
	v_and_b32_e32 v10, 7, v23
	v_lshrrev_b32_e32 v16, 8, v17
	v_cmp_ne_u32_e32 vcc_lo, 0, v3
	v_or_b32_e32 v11, v28, v14
	v_lshl_or_b32 v14, v24, 12, v1
	v_bfe_u32 v25, v17, 20, 11
	s_wait_alu 0xfffe
	v_add_nc_u32_e32 v19, s2, v19
	s_wait_alu 0xfffd
	v_cndmask_b32_e64 v3, 0, 1, vcc_lo
	v_cmp_lt_i32_e32 vcc_lo, 5, v10
	s_wait_alu 0xf1ff
	v_cndmask_b32_e64 v11, v14, v11, s0
	v_cmp_eq_u32_e64 s0, 3, v10
	v_sub_nc_u32_e32 v14, 0x3f1, v25
	v_and_or_b32 v3, 0xffe, v16, v3
	v_lshrrev_b32_e32 v10, 2, v23
	v_and_b32_e32 v16, 7, v11
	s_or_b32 vcc_lo, s0, vcc_lo
	v_med3_i32 v14, v14, 0, 13
	v_or_b32_e32 v23, 0x1000, v3
	s_wait_alu 0xfffe
	v_add_co_ci_u32_e32 v10, vcc_lo, 0, v10, vcc_lo
	v_cmp_lt_i32_e32 vcc_lo, 5, v16
	v_cmp_eq_u32_e64 s0, 3, v16
	v_lshrrev_b32_e32 v11, 2, v11
	v_lshrrev_b32_e32 v16, v14, v23
	global_store_b32 v[18:19], v26, off
	v_fma_f16 v5, v76, v22, -v5
	s_or_b32 vcc_lo, s0, vcc_lo
	v_lshl_or_b32 v12, v12, 9, 0x7c00
	s_wait_alu 0xfffe
	v_add_co_ci_u32_e32 v26, vcc_lo, 0, v11, vcc_lo
	v_lshlrev_b32_e32 v14, v14, v16
	v_cmp_gt_i32_e32 vcc_lo, 31, v27
	v_cvt_f32_f16_e32 v5, v5
	v_lshrrev_b32_e32 v17, 16, v17
	v_and_or_b32 v8, 0x1ff, v9, v8
	v_bfe_u32 v22, v9, 20, 11
	s_wait_alu 0xfffd
	v_cndmask_b32_e32 v28, 0x7c00, v10, vcc_lo
	v_cmp_ne_u32_e32 vcc_lo, v14, v23
	v_mul_f64_e32 v[10:11], s[12:13], v[20:21]
	v_add_nc_u32_e32 v23, 0xfffffc10, v25
	v_lshrrev_b32_e32 v20, 8, v9
	v_lshrrev_b32_e32 v9, 16, v9
	s_wait_alu 0xfffd
	v_cndmask_b32_e64 v14, 0, 1, vcc_lo
	v_cmp_gt_i32_e32 vcc_lo, 31, v24
	s_delay_alu instid0(VALU_DEP_2)
	v_or_b32_e32 v14, v16, v14
	s_wait_alu 0xfffd
	v_cndmask_b32_e32 v25, 0x7c00, v26, vcc_lo
	v_cmp_ne_u32_e32 vcc_lo, 0, v8
	v_lshl_or_b32 v16, v23, 12, v3
	s_wait_alu 0xfffd
	v_cndmask_b32_e64 v8, 0, 1, vcc_lo
	v_cmp_ne_u32_e32 vcc_lo, 0, v1
	s_delay_alu instid0(VALU_DEP_2)
	v_and_or_b32 v8, 0xffe, v20, v8
	s_wait_alu 0xfffd
	v_cndmask_b32_e64 v1, 0, 1, vcc_lo
	v_cmp_gt_i32_e32 vcc_lo, 1, v23
	v_cvt_f64_f32_e32 v[20:21], v5
	v_sub_nc_u32_e32 v5, 0x3f1, v22
	s_delay_alu instid0(VALU_DEP_4)
	v_lshl_or_b32 v1, v1, 9, 0x7c00
	s_wait_alu 0xfffd
	v_cndmask_b32_e32 v14, v16, v14, vcc_lo
	v_cmp_eq_u32_e32 vcc_lo, 0x40f, v27
	v_lshrrev_b32_e32 v27, 16, v4
	v_or_b32_e32 v16, 0x1000, v8
	v_med3_i32 v5, v5, 0, 13
	v_and_b32_e32 v26, 7, v14
	s_wait_alu 0xfffd
	v_cndmask_b32_e32 v12, v28, v12, vcc_lo
	v_cmp_eq_u32_e32 vcc_lo, 0x40f, v24
	v_lshrrev_b32_e32 v24, v5, v16
	v_cmp_eq_u32_e64 s0, 3, v26
	v_and_or_b32 v10, 0x1ff, v11, v10
	s_wait_alu 0xfffd
	v_cndmask_b32_e32 v1, v25, v1, vcc_lo
	v_lshrrev_b32_e32 v25, 16, v15
	v_mul_f16_e32 v15, v91, v27
	v_cmp_lt_i32_e32 vcc_lo, 5, v26
	v_lshlrev_b32_e32 v5, v5, v24
	v_and_or_b32 v26, 0x8000, v13, v12
	v_lshrrev_b32_e32 v12, 2, v14
	v_fmac_f16_e32 v15, v75, v4
	s_or_b32 vcc_lo, s0, vcc_lo
	v_cmp_ne_u32_e64 s1, v5, v16
	v_add_nc_u32_e32 v16, 0xfffffc10, v22
	s_wait_alu 0xfffe
	v_add_co_ci_u32_e32 v22, vcc_lo, 0, v12, vcc_lo
	v_cvt_f32_f16_e32 v13, v15
	v_cmp_ne_u32_e32 vcc_lo, 0, v10
	s_wait_alu 0xf1ff
	v_cndmask_b32_e64 v5, 0, 1, s1
	v_lshrrev_b32_e32 v28, 8, v11
	v_bfe_u32 v29, v11, 20, 11
	v_cvt_f64_f32_e32 v[12:13], v13
	s_wait_alu 0xfffd
	v_cndmask_b32_e64 v10, 0, 1, vcc_lo
	v_cmp_ne_u32_e32 vcc_lo, 0, v3
	v_or_b32_e32 v5, v24, v5
	v_lshl_or_b32 v24, v16, 12, v8
	v_mul_f64_e32 v[14:15], s[12:13], v[20:21]
	v_and_or_b32 v10, 0xffe, v28, v10
	s_wait_alu 0xfffd
	v_cndmask_b32_e64 v3, 0, 1, vcc_lo
	v_cmp_gt_i32_e32 vcc_lo, 1, v16
	v_sub_nc_u32_e32 v20, 0x3f1, v29
	v_and_or_b32 v1, 0x8000, v25, v1
	v_lshrrev_b32_e32 v11, 16, v11
	v_lshl_or_b32 v3, v3, 9, 0x7c00
	s_wait_alu 0xfffd
	v_cndmask_b32_e32 v5, v24, v5, vcc_lo
	v_cmp_gt_i32_e32 vcc_lo, 31, v23
	v_med3_i32 v20, v20, 0, 13
	s_wait_alu 0xfffd
	s_delay_alu instid0(VALU_DEP_3) | instskip(SKIP_2) | instid1(VALU_DEP_3)
	v_dual_cndmask_b32 v21, 0x7c00, v22 :: v_dual_and_b32 v24, 7, v5
	v_cmp_eq_u32_e32 vcc_lo, 0x40f, v23
	v_or_b32_e32 v22, 0x1000, v10
	v_cmp_eq_u32_e64 s0, 3, v24
	s_wait_alu 0xfffd
	v_cndmask_b32_e32 v21, v21, v3, vcc_lo
	v_cmp_lt_i32_e32 vcc_lo, 5, v24
	v_mul_f16_e32 v3, v91, v4
	v_lshrrev_b32_e32 v23, v20, v22
	v_lshrrev_b32_e32 v4, 2, v5
	v_and_or_b32 v17, 0x8000, v17, v21
	s_or_b32 vcc_lo, s0, vcc_lo
	v_fma_f16 v3, v75, v27, -v3
	v_lshlrev_b32_e32 v5, v20, v23
	s_wait_alu 0xfffe
	v_add_co_ci_u32_e32 v20, vcc_lo, 0, v4, vcc_lo
	v_cmp_ne_u32_e32 vcc_lo, 0, v8
	v_cvt_f32_f16_e32 v25, v3
	v_mul_f64_e32 v[3:4], s[12:13], v[12:13]
	v_and_b32_e32 v24, 0xffff, v26
	v_and_b32_e32 v17, 0xffff, v17
	s_wait_alu 0xfffd
	v_cndmask_b32_e64 v8, 0, 1, vcc_lo
	v_cmp_ne_u32_e32 vcc_lo, v5, v22
	v_cvt_f64_f32_e32 v[12:13], v25
	v_and_or_b32 v14, 0x1ff, v15, v14
	v_add_nc_u32_e32 v22, 0xfffffc10, v29
	v_lshl_or_b32 v8, v8, 9, 0x7c00
	s_wait_alu 0xfffd
	v_cndmask_b32_e64 v5, 0, 1, vcc_lo
	v_cmp_gt_i32_e32 vcc_lo, 31, v16
	v_lshrrev_b32_e32 v25, 16, v2
	v_lshl_or_b32 v1, v1, 16, v24
	s_delay_alu instid0(VALU_DEP_4)
	v_or_b32_e32 v5, v23, v5
	s_wait_alu 0xfffd
	v_cndmask_b32_e32 v20, 0x7c00, v20, vcc_lo
	v_cmp_eq_u32_e32 vcc_lo, 0x40f, v16
	v_lshl_or_b32 v23, v22, 12, v10
	v_lshrrev_b32_e32 v16, 8, v15
	s_wait_alu 0xfffd
	v_cndmask_b32_e32 v8, v20, v8, vcc_lo
	v_cmp_ne_u32_e32 vcc_lo, 0, v14
	v_bfe_u32 v20, v15, 20, 11
	s_delay_alu instid0(VALU_DEP_3) | instskip(SKIP_3) | instid1(VALU_DEP_3)
	v_and_or_b32 v21, 0x8000, v9, v8
	s_wait_alu 0xfffd
	v_cndmask_b32_e64 v14, 0, 1, vcc_lo
	v_cmp_gt_i32_e32 vcc_lo, 1, v22
	v_lshl_or_b32 v21, v21, 16, v17
	s_delay_alu instid0(VALU_DEP_3)
	v_and_or_b32 v14, 0xffe, v16, v14
	s_wait_alu 0xfffd
	v_cndmask_b32_e32 v5, v23, v5, vcc_lo
	v_sub_nc_u32_e32 v16, 0x3f1, v20
	v_add_co_u32 v8, vcc_lo, v18, s10
	v_or_b32_e32 v24, 0x1000, v14
	s_delay_alu instid0(VALU_DEP_4) | instskip(NEXT) | instid1(VALU_DEP_4)
	v_and_b32_e32 v23, 7, v5
	v_med3_i32 v16, v16, 0, 13
	v_mul_f16_e32 v17, v90, v25
	s_wait_alu 0xfffd
	v_add_co_ci_u32_e32 v9, vcc_lo, s11, v19, vcc_lo
	v_cmp_lt_i32_e32 vcc_lo, 5, v23
	v_cmp_eq_u32_e64 s0, 3, v23
	v_lshrrev_b32_e32 v5, 2, v5
	v_lshrrev_b32_e32 v18, v16, v24
	v_and_or_b32 v3, 0x1ff, v4, v3
	v_fmac_f16_e32 v17, v74, v2
	s_or_b32 vcc_lo, s0, vcc_lo
	v_mul_f64_e32 v[12:13], s[12:13], v[12:13]
	s_wait_alu 0xfffe
	v_add_co_ci_u32_e32 v5, vcc_lo, 0, v5, vcc_lo
	v_lshlrev_b32_e32 v16, v16, v18
	v_cvt_f32_f16_e32 v17, v17
	v_cmp_ne_u32_e32 vcc_lo, 0, v3
	v_lshrrev_b32_e32 v19, 8, v4
	v_bfe_u32 v23, v4, 20, 11
	v_add_nc_u32_e32 v20, 0xfffffc10, v20
	v_mul_f16_e32 v2, v90, v2
	s_wait_alu 0xfffd
	v_cndmask_b32_e64 v3, 0, 1, vcc_lo
	v_cmp_ne_u32_e32 vcc_lo, v16, v24
	v_cvt_f64_f32_e32 v[16:17], v17
	global_store_b32 v[8:9], v1, off
	v_fma_f16 v1, v74, v25, -v2
	v_and_or_b32 v3, 0xffe, v19, v3
	s_wait_alu 0xfffd
	v_cndmask_b32_e64 v24, 0, 1, vcc_lo
	v_cmp_ne_u32_e32 vcc_lo, 0, v10
	v_sub_nc_u32_e32 v19, 0x3f1, v23
	v_cvt_f32_f16_e32 v1, v1
	s_delay_alu instid0(VALU_DEP_4)
	v_or_b32_e32 v18, v18, v24
	s_wait_alu 0xfffd
	v_cndmask_b32_e64 v10, 0, 1, vcc_lo
	v_cmp_gt_i32_e32 vcc_lo, 31, v22
	v_or_b32_e32 v24, 0x1000, v3
	v_med3_i32 v26, v19, 0, 13
	v_lshl_or_b32 v19, v20, 12, v14
	v_lshl_or_b32 v10, v10, 9, 0x7c00
	s_wait_alu 0xfffd
	v_cndmask_b32_e32 v5, 0x7c00, v5, vcc_lo
	v_cmp_gt_i32_e32 vcc_lo, 1, v20
	v_lshrrev_b32_e32 v27, v26, v24
	s_wait_alu 0xfffd
	v_cndmask_b32_e32 v28, v19, v18, vcc_lo
	v_add_co_u32 v18, vcc_lo, v8, s10
	s_wait_alu 0xfffd
	v_add_co_ci_u32_e32 v19, vcc_lo, s11, v9, vcc_lo
	v_cmp_eq_u32_e32 vcc_lo, 0x40f, v22
	v_lshlrev_b32_e32 v22, v26, v27
	v_and_or_b32 v8, 0x1ff, v13, v12
	v_add_nc_u32_e32 v12, 0xfffffc10, v23
	global_store_b32 v[18:19], v21, off
	s_wait_alu 0xfffd
	v_dual_cndmask_b32 v5, v5, v10 :: v_dual_and_b32 v10, 7, v28
	v_cmp_ne_u32_e64 s0, v22, v24
	v_cmp_ne_u32_e64 s1, 0, v8
	v_lshl_or_b32 v23, v12, 12, v3
	s_delay_alu instid0(VALU_DEP_4)
	v_and_or_b32 v5, 0x8000, v11, v5
	v_cmp_lt_i32_e32 vcc_lo, 5, v10
	s_wait_alu 0xf1ff
	v_cndmask_b32_e64 v2, 0, 1, s0
	v_cmp_eq_u32_e64 s0, 3, v10
	v_lshrrev_b32_e32 v10, 2, v28
	v_mul_f64_e32 v[8:9], s[12:13], v[16:17]
	v_cndmask_b32_e64 v24, 0, 1, s1
	v_or_b32_e32 v22, v27, v2
	v_cvt_f64_f32_e32 v[1:2], v1
	s_or_b32 vcc_lo, s0, vcc_lo
	v_lshrrev_b32_e32 v16, 8, v13
	s_wait_alu 0xfffe
	v_add_co_ci_u32_e32 v10, vcc_lo, 0, v10, vcc_lo
	v_bfe_u32 v17, v13, 20, 11
	v_cmp_gt_i32_e32 vcc_lo, 1, v12
	v_and_or_b32 v16, 0xffe, v16, v24
	v_cmp_eq_u32_e64 s1, 0x40f, v20
	v_and_b32_e32 v5, 0xffff, v5
	v_sub_nc_u32_e32 v24, 0x3f1, v17
	s_wait_alu 0xfffd
	v_cndmask_b32_e32 v22, v23, v22, vcc_lo
	v_cmp_ne_u32_e32 vcc_lo, 0, v14
	v_or_b32_e32 v23, 0x1000, v16
	v_add_nc_u32_e32 v17, 0xfffffc10, v17
	v_med3_i32 v24, v24, 0, 13
	v_and_b32_e32 v21, 7, v22
	s_wait_alu 0xfffd
	v_cndmask_b32_e64 v14, 0, 1, vcc_lo
	v_cmp_gt_i32_e32 vcc_lo, 31, v20
	v_lshrrev_b32_e32 v11, 2, v22
	v_lshrrev_b32_e32 v25, v24, v23
	v_cmp_eq_u32_e64 s0, 3, v21
	v_lshl_or_b32 v14, v14, 9, 0x7c00
	s_wait_alu 0xfffd
	v_cndmask_b32_e32 v10, 0x7c00, v10, vcc_lo
	v_cmp_lt_i32_e32 vcc_lo, 5, v21
	v_lshl_or_b32 v21, v17, 12, v16
	v_lshrrev_b32_e32 v13, 16, v13
	s_wait_alu 0xf1ff
	v_cndmask_b32_e64 v10, v10, v14, s1
	v_lshrrev_b32_e32 v14, 16, v15
	v_lshlrev_b32_e32 v15, v24, v25
	s_or_b32 vcc_lo, s0, vcc_lo
	s_wait_alu 0xfffe
	v_add_co_ci_u32_e32 v11, vcc_lo, 0, v11, vcc_lo
	s_delay_alu instid0(VALU_DEP_2)
	v_cmp_ne_u32_e32 vcc_lo, v15, v23
	v_and_or_b32 v14, 0x8000, v14, v10
	v_lshrrev_b32_e32 v15, 16, v7
	v_mul_f64_e32 v[1:2], s[12:13], v[1:2]
	v_and_or_b32 v8, 0x1ff, v9, v8
	s_wait_alu 0xfffd
	v_cndmask_b32_e64 v10, 0, 1, vcc_lo
	v_cmp_gt_i32_e32 vcc_lo, 31, v12
	v_lshrrev_b32_e32 v22, 8, v9
	v_bfe_u32 v23, v9, 20, 11
	v_lshl_or_b32 v5, v14, 16, v5
	v_or_b32_e32 v10, v25, v10
	s_wait_alu 0xfffd
	v_cndmask_b32_e32 v20, 0x7c00, v11, vcc_lo
	v_cmp_ne_u32_e32 vcc_lo, 0, v3
	v_mul_f16_e32 v11, v89, v15
	v_lshrrev_b32_e32 v9, 16, v9
	s_wait_alu 0xfffd
	v_cndmask_b32_e64 v3, 0, 1, vcc_lo
	v_cmp_ne_u32_e32 vcc_lo, 0, v8
	v_fmac_f16_e32 v11, v73, v7
	s_delay_alu instid0(VALU_DEP_3) | instskip(SKIP_4) | instid1(VALU_DEP_3)
	v_lshl_or_b32 v3, v3, 9, 0x7c00
	s_wait_alu 0xfffd
	v_cndmask_b32_e64 v8, 0, 1, vcc_lo
	v_cmp_gt_i32_e32 vcc_lo, 1, v17
	v_cvt_f32_f16_e32 v11, v11
	v_and_or_b32 v22, 0xffe, v22, v8
	s_wait_alu 0xfffd
	v_cndmask_b32_e32 v21, v21, v10, vcc_lo
	s_delay_alu instid0(VALU_DEP_3)
	v_cvt_f64_f32_e32 v[10:11], v11
	v_cmp_eq_u32_e32 vcc_lo, 0x40f, v12
	v_sub_nc_u32_e32 v8, 0x3f1, v23
	v_or_b32_e32 v25, 0x1000, v22
	v_and_b32_e32 v24, 7, v21
	v_add_nc_u32_e32 v23, 0xfffffc10, v23
	s_wait_alu 0xfffd
	v_cndmask_b32_e32 v12, v20, v3, vcc_lo
	v_lshrrev_b32_e32 v20, 16, v4
	v_mul_f16_e32 v4, v89, v7
	v_cmp_lt_i32_e32 vcc_lo, 5, v24
	v_cmp_eq_u32_e64 s0, 3, v24
	v_lshrrev_b32_e32 v7, 2, v21
	v_med3_i32 v3, v8, 0, 13
	v_fma_f16 v4, v73, v15, -v4
	v_and_or_b32 v1, 0x1ff, v2, v1
	s_or_b32 vcc_lo, s0, vcc_lo
	v_bfe_u32 v24, v2, 20, 11
	s_wait_alu 0xfffe
	v_add_co_ci_u32_e32 v7, vcc_lo, 0, v7, vcc_lo
	v_cmp_ne_u32_e32 vcc_lo, 0, v16
	v_lshrrev_b32_e32 v8, v3, v25
	v_lshl_or_b32 v26, v23, 12, v22
	v_and_or_b32 v12, 0x8000, v20, v12
	v_lshrrev_b32_e32 v20, 16, v0
	s_wait_alu 0xfffd
	v_cndmask_b32_e64 v16, 0, 1, vcc_lo
	v_cmp_gt_i32_e32 vcc_lo, 31, v17
	v_lshlrev_b32_e32 v15, v3, v8
	v_cvt_f32_f16_e32 v3, v4
	s_delay_alu instid0(VALU_DEP_4)
	v_lshl_or_b32 v16, v16, 9, 0x7c00
	s_wait_alu 0xfffd
	v_cndmask_b32_e32 v21, 0x7c00, v7, vcc_lo
	v_cmp_ne_u32_e32 vcc_lo, 0, v1
	v_cvt_f64_f32_e32 v[3:4], v3
	v_lshrrev_b32_e32 v7, 8, v2
	s_wait_alu 0xfffd
	v_cndmask_b32_e64 v1, 0, 1, vcc_lo
	v_cmp_ne_u32_e32 vcc_lo, v15, v25
	v_sub_nc_u32_e32 v25, 0x3f1, v24
	s_delay_alu instid0(VALU_DEP_3)
	v_and_or_b32 v1, 0xffe, v7, v1
	s_wait_alu 0xfffd
	v_cndmask_b32_e64 v15, 0, 1, vcc_lo
	v_cmp_eq_u32_e32 vcc_lo, 0x40f, v17
	v_and_b32_e32 v17, 0xffff, v12
	v_or_b32_e32 v27, 0x1000, v1
	s_delay_alu instid0(VALU_DEP_4)
	v_or_b32_e32 v15, v8, v15
	v_mul_f64_e32 v[7:8], s[12:13], v[10:11]
	v_med3_i32 v10, v25, 0, 13
	s_wait_alu 0xfffd
	v_cndmask_b32_e32 v11, v21, v16, vcc_lo
	v_cmp_gt_i32_e32 vcc_lo, 1, v23
	s_delay_alu instid0(VALU_DEP_3) | instskip(NEXT) | instid1(VALU_DEP_3)
	v_lshrrev_b32_e32 v16, v10, v27
	v_and_or_b32 v14, 0x8000, v13, v11
	s_wait_alu 0xfffd
	v_cndmask_b32_e32 v15, v26, v15, vcc_lo
	v_lshrrev_b32_e32 v26, 16, v6
	v_lshlrev_b32_e32 v13, v10, v16
	v_add_co_u32 v10, vcc_lo, v18, s10
	s_delay_alu instid0(VALU_DEP_4) | instskip(SKIP_1) | instid1(VALU_DEP_4)
	v_and_b32_e32 v12, 7, v15
	v_mul_f16_e32 v18, v88, v20
	v_cmp_ne_u32_e64 s1, v13, v27
	s_wait_alu 0xfffd
	v_add_co_ci_u32_e32 v11, vcc_lo, s11, v19, vcc_lo
	v_cmp_lt_i32_e32 vcc_lo, 5, v12
	v_cmp_eq_u32_e64 s0, 3, v12
	s_wait_alu 0xf1ff
	v_cndmask_b32_e64 v12, 0, 1, s1
	v_fmac_f16_e32 v18, v72, v0
	v_lshrrev_b32_e32 v13, 2, v15
	v_add_nc_u32_e32 v19, 0xfffffc10, v24
	s_or_b32 vcc_lo, s0, vcc_lo
	v_or_b32_e32 v12, v16, v12
	v_cvt_f32_f16_e32 v16, v18
	s_wait_alu 0xfffe
	v_add_co_ci_u32_e32 v18, vcc_lo, 0, v13, vcc_lo
	v_mul_f64_e32 v[3:4], s[12:13], v[3:4]
	v_lshl_or_b32 v15, v19, 12, v1
	v_cmp_gt_i32_e32 vcc_lo, 1, v19
	v_lshl_or_b32 v17, v14, 16, v17
	v_mul_f16_e32 v0, v88, v0
	s_wait_alu 0xfffd
	v_cndmask_b32_e32 v15, v15, v12, vcc_lo
	v_cvt_f64_f32_e32 v[12:13], v16
	v_cmp_ne_u32_e32 vcc_lo, 0, v22
	v_and_or_b32 v7, 0x1ff, v8, v7
	v_fma_f16 v0, v72, v20, -v0
	v_and_b32_e32 v21, 7, v15
	v_lshrrev_b32_e32 v15, 2, v15
	s_wait_alu 0xfffd
	v_cndmask_b32_e64 v16, 0, 1, vcc_lo
	v_cmp_gt_i32_e32 vcc_lo, 31, v23
	v_cmp_ne_u32_e64 s1, 0, v7
	v_cmp_eq_u32_e64 s0, 3, v21
	v_cvt_f32_f16_e32 v0, v0
	v_lshl_or_b32 v16, v16, 9, 0x7c00
	s_wait_alu 0xfffd
	v_cndmask_b32_e32 v14, 0x7c00, v18, vcc_lo
	v_cmp_lt_i32_e32 vcc_lo, 5, v21
	s_wait_alu 0xf1ff
	v_cndmask_b32_e64 v7, 0, 1, s1
	v_lshrrev_b32_e32 v18, 8, v8
	v_bfe_u32 v21, v8, 20, 11
	s_or_b32 vcc_lo, s0, vcc_lo
	s_wait_alu 0xfffe
	v_add_co_ci_u32_e32 v15, vcc_lo, 0, v15, vcc_lo
	v_cmp_ne_u32_e32 vcc_lo, 0, v1
	v_and_or_b32 v7, 0xffe, v18, v7
	v_sub_nc_u32_e32 v18, 0x3f1, v21
	v_add_nc_u32_e32 v21, 0xfffffc10, v21
	s_wait_alu 0xfffd
	v_cndmask_b32_e64 v1, 0, 1, vcc_lo
	v_cmp_gt_i32_e32 vcc_lo, 31, v19
	v_or_b32_e32 v22, 0x1000, v7
	v_med3_i32 v18, v18, 0, 13
	v_and_or_b32 v3, 0x1ff, v4, v3
	v_lshl_or_b32 v1, v1, 9, 0x7c00
	s_wait_alu 0xfffd
	v_cndmask_b32_e32 v15, 0x7c00, v15, vcc_lo
	v_cmp_eq_u32_e32 vcc_lo, 0x40f, v23
	v_lshrrev_b32_e32 v23, v18, v22
	v_bfe_u32 v20, v4, 20, 11
	v_cmp_eq_u32_e64 s1, 0x40f, v21
	s_wait_alu 0xfffd
	v_cndmask_b32_e32 v16, v14, v16, vcc_lo
	v_cmp_eq_u32_e32 vcc_lo, 0x40f, v19
	v_lshrrev_b32_e32 v19, 16, v2
	v_lshlrev_b32_e32 v18, v18, v23
	s_delay_alu instid0(VALU_DEP_4)
	v_and_or_b32 v9, 0x8000, v9, v16
	s_wait_alu 0xfffd
	v_cndmask_b32_e32 v1, v15, v1, vcc_lo
	v_cmp_ne_u32_e32 vcc_lo, 0, v3
	v_mul_f64_e32 v[2:3], s[12:13], v[12:13]
	v_lshrrev_b32_e32 v15, 8, v4
	v_cvt_f64_f32_e32 v[12:13], v0
	v_and_or_b32 v16, 0x8000, v19, v1
	s_wait_alu 0xfffd
	v_cndmask_b32_e64 v14, 0, 1, vcc_lo
	v_cmp_ne_u32_e32 vcc_lo, v18, v22
	v_mul_f16_e32 v19, v87, v26
	v_and_b32_e32 v28, 0xffff, v9
	v_lshrrev_b32_e32 v4, 16, v4
	v_and_or_b32 v24, 0xffe, v15, v14
	v_sub_nc_u32_e32 v14, 0x3f1, v20
	s_wait_alu 0xfffd
	v_cndmask_b32_e64 v18, 0, 1, vcc_lo
	v_fmac_f16_e32 v19, v71, v6
	v_mul_f16_e32 v6, v87, v6
	v_or_b32_e32 v22, 0x1000, v24
	v_med3_i32 v0, v14, 0, 13
	v_add_co_u32 v14, vcc_lo, v10, s10
	s_wait_alu 0xfffd
	v_add_co_ci_u32_e32 v15, vcc_lo, s11, v11, vcc_lo
	v_or_b32_e32 v18, v23, v18
	v_lshl_or_b32 v23, v21, 12, v7
	v_lshrrev_b32_e32 v25, v0, v22
	v_cmp_gt_i32_e32 vcc_lo, 1, v21
	global_store_b32 v[10:11], v5, off
	global_store_b32 v[14:15], v17, off
	v_cvt_f32_f16_e32 v5, v19
	s_wait_alu 0xfffd
	v_dual_cndmask_b32 v18, v23, v18 :: v_dual_lshlrev_b32 v23, v0, v25
	v_mad_co_u64_u32 v[0:1], null, 0xffffd954, s8, v[14:15]
	v_add_nc_u32_e32 v14, 0xfffffc10, v20
	s_delay_alu instid0(VALU_DEP_3) | instskip(NEXT) | instid1(VALU_DEP_4)
	v_and_b32_e32 v27, 7, v18
	v_cmp_ne_u32_e64 s0, v23, v22
	v_lshrrev_b32_e32 v15, 2, v18
	v_cvt_f64_f32_e32 v[9:10], v5
	v_lshl_or_b32 v17, v14, 12, v24
	v_cmp_lt_i32_e32 vcc_lo, 5, v27
	s_wait_alu 0xf1ff
	v_cndmask_b32_e64 v11, 0, 1, s0
	v_cmp_eq_u32_e64 s0, 3, v27
	v_and_or_b32 v2, 0x1ff, v3, v2
	v_lshrrev_b32_e32 v18, 8, v3
	v_bfe_u32 v19, v3, 20, 11
	v_or_b32_e32 v5, v25, v11
	s_or_b32 vcc_lo, s0, vcc_lo
	v_mul_f64_e32 v[11:12], s[12:13], v[12:13]
	s_wait_alu 0xfffe
	v_add_co_ci_u32_e32 v15, vcc_lo, 0, v15, vcc_lo
	v_cmp_ne_u32_e32 vcc_lo, 0, v2
	ds_load_b32 v22, v69 offset:12600
	v_add_nc_u32_e32 v1, s2, v1
	s_wait_alu 0xfffd
	v_cndmask_b32_e64 v2, 0, 1, vcc_lo
	v_cmp_gt_i32_e32 vcc_lo, 1, v14
	s_delay_alu instid0(VALU_DEP_2)
	v_and_or_b32 v13, 0xffe, v18, v2
	s_wait_alu 0xfffd
	v_cndmask_b32_e32 v5, v17, v5, vcc_lo
	v_cmp_ne_u32_e32 vcc_lo, 0, v7
	v_sub_nc_u32_e32 v2, 0x3f1, v19
	v_or_b32_e32 v18, 0x1000, v13
	s_delay_alu instid0(VALU_DEP_4)
	v_and_b32_e32 v17, 7, v5
	s_wait_alu 0xfffd
	v_cndmask_b32_e64 v7, 0, 1, vcc_lo
	v_cmp_gt_i32_e32 vcc_lo, 31, v21
	v_med3_i32 v20, v2, 0, 13
	v_lshrrev_b32_e32 v5, 2, v5
	v_cmp_eq_u32_e64 s0, 3, v17
	v_lshl_or_b32 v2, v16, 16, v28
	s_wait_alu 0xfffd
	v_cndmask_b32_e32 v15, 0x7c00, v15, vcc_lo
	v_cmp_lt_i32_e32 vcc_lo, 5, v17
	v_lshrrev_b32_e32 v17, v20, v18
	v_lshl_or_b32 v7, v7, 9, 0x7c00
	v_lshrrev_b32_e32 v21, 16, v8
	s_or_b32 vcc_lo, s0, vcc_lo
	s_delay_alu instid0(VALU_DEP_3)
	v_lshlrev_b32_e32 v16, v20, v17
	s_wait_alu 0xfffe
	v_add_co_ci_u32_e32 v5, vcc_lo, 0, v5, vcc_lo
	v_cmp_ne_u32_e32 vcc_lo, 0, v24
	v_cndmask_b32_e64 v15, v15, v7, s1
	v_mul_f64_e32 v[7:8], s[12:13], v[9:10]
	v_and_or_b32 v11, 0x1ff, v12, v11
	s_wait_alu 0xfffd
	v_cndmask_b32_e64 v20, 0, 1, vcc_lo
	v_cmp_ne_u32_e32 vcc_lo, v16, v18
	v_add_nc_u32_e32 v16, 0xfffffc10, v19
	v_bfe_u32 v19, v12, 20, 11
	v_and_or_b32 v15, 0x8000, v21, v15
	v_lshl_or_b32 v18, v20, 9, 0x7c00
	s_wait_alu 0xfffd
	v_cndmask_b32_e64 v9, 0, 1, vcc_lo
	v_cmp_gt_i32_e32 vcc_lo, 31, v14
	s_wait_dscnt 0x0
	v_lshrrev_b32_e32 v20, 16, v22
	v_and_b32_e32 v15, 0xffff, v15
	s_wait_alu 0xfffd
	v_cndmask_b32_e32 v10, 0x7c00, v5, vcc_lo
	v_fma_f16 v5, v71, v26, -v6
	v_or_b32_e32 v6, v17, v9
	v_lshl_or_b32 v9, v16, 12, v13
	v_cmp_gt_i32_e32 vcc_lo, 1, v16
	v_lshrrev_b32_e32 v17, 8, v12
	v_cvt_f32_f16_e32 v5, v5
	v_lshrrev_b32_e32 v12, 16, v12
	s_wait_alu 0xfffd
	v_cndmask_b32_e32 v9, v9, v6, vcc_lo
	v_cmp_ne_u32_e32 vcc_lo, 0, v11
	v_cvt_f64_f32_e32 v[5:6], v5
	s_wait_alu 0xfffd
	v_cndmask_b32_e64 v11, 0, 1, vcc_lo
	v_cmp_eq_u32_e32 vcc_lo, 0x40f, v14
	v_and_b32_e32 v14, 7, v9
	s_delay_alu instid0(VALU_DEP_3)
	v_and_or_b32 v11, 0xffe, v17, v11
	s_wait_alu 0xfffd
	v_cndmask_b32_e32 v10, v10, v18, vcc_lo
	v_mul_f16_e32 v18, v86, v20
	v_sub_nc_u32_e32 v17, 0x3f1, v19
	v_cmp_lt_i32_e32 vcc_lo, 5, v14
	v_cmp_eq_u32_e64 s0, 3, v14
	v_or_b32_e32 v21, 0x1000, v11
	v_fmac_f16_e32 v18, v70, v22
	v_med3_i32 v17, v17, 0, 13
	v_and_or_b32 v14, 0x8000, v4, v10
	v_lshrrev_b32_e32 v4, 2, v9
	s_or_b32 vcc_lo, s0, vcc_lo
	v_cvt_f32_f16_e32 v9, v18
	v_lshrrev_b32_e32 v23, v17, v21
	v_and_or_b32 v7, 0x1ff, v8, v7
	s_wait_alu 0xfffe
	v_add_co_ci_u32_e32 v18, vcc_lo, 0, v4, vcc_lo
	v_cvt_f64_f32_e32 v[9:10], v9
	v_mul_f16_e32 v4, v86, v22
	v_lshlrev_b32_e32 v17, v17, v23
	v_cmp_ne_u32_e32 vcc_lo, 0, v7
	v_lshrrev_b32_e32 v22, 8, v8
	v_add_nc_u32_e32 v19, 0xfffffc10, v19
	v_fma_f16 v4, v70, v20, -v4
	v_bfe_u32 v20, v8, 20, 11
	s_wait_alu 0xfffd
	v_cndmask_b32_e64 v7, 0, 1, vcc_lo
	v_cmp_ne_u32_e32 vcc_lo, v17, v21
	v_lshl_or_b32 v14, v14, 16, v15
	v_cvt_f32_f16_e32 v21, v4
	v_sub_nc_u32_e32 v24, 0x3f1, v20
	v_and_or_b32 v22, 0xffe, v22, v7
	s_wait_alu 0xfffd
	v_cndmask_b32_e64 v17, 0, 1, vcc_lo
	v_mul_f64_e32 v[4:5], s[12:13], v[5:6]
	v_cvt_f64_f32_e32 v[6:7], v21
	v_cmp_ne_u32_e32 vcc_lo, 0, v13
	v_or_b32_e32 v21, 0x1000, v22
	v_or_b32_e32 v17, v23, v17
	v_med3_i32 v23, v24, 0, 13
	v_lshl_or_b32 v24, v19, 12, v11
	s_wait_alu 0xfffd
	v_cndmask_b32_e64 v13, 0, 1, vcc_lo
	v_cmp_gt_i32_e32 vcc_lo, 1, v19
	v_lshrrev_b32_e32 v15, 16, v3
	v_lshrrev_b32_e32 v25, v23, v21
	;; [unrolled: 1-line block ×3, first 2 shown]
	v_lshl_or_b32 v13, v13, 9, 0x7c00
	s_wait_alu 0xfffd
	v_cndmask_b32_e32 v17, v24, v17, vcc_lo
	v_cmp_gt_i32_e32 vcc_lo, 31, v16
	v_lshlrev_b32_e32 v23, v23, v25
	s_delay_alu instid0(VALU_DEP_3)
	v_and_b32_e32 v24, 7, v17
	s_wait_alu 0xfffd
	v_cndmask_b32_e32 v18, 0x7c00, v18, vcc_lo
	v_cmp_eq_u32_e32 vcc_lo, 0x40f, v16
	v_lshrrev_b32_e32 v3, 2, v17
	v_cmp_ne_u32_e64 s1, v23, v21
	v_cmp_eq_u32_e64 s0, 3, v24
	v_mul_f64_e32 v[9:10], s[12:13], v[9:10]
	s_wait_alu 0xfffd
	v_cndmask_b32_e32 v13, v18, v13, vcc_lo
	v_cmp_lt_i32_e32 vcc_lo, 5, v24
	s_wait_alu 0xf1ff
	v_cndmask_b32_e64 v16, 0, 1, s1
	v_add_nc_u32_e32 v17, 0xfffffc10, v20
	v_and_or_b32 v13, 0x8000, v15, v13
	s_or_b32 vcc_lo, s0, vcc_lo
	s_delay_alu instid0(VALU_DEP_3)
	v_or_b32_e32 v16, v25, v16
	s_wait_alu 0xfffe
	v_add_co_ci_u32_e32 v3, vcc_lo, 0, v3, vcc_lo
	v_cmp_ne_u32_e32 vcc_lo, 0, v11
	v_lshl_or_b32 v18, v17, 12, v22
	v_and_b32_e32 v13, 0xffff, v13
	v_and_or_b32 v21, 0x1ff, v5, v4
	v_bfe_u32 v23, v5, 20, 11
	s_wait_alu 0xfffd
	v_cndmask_b32_e64 v11, 0, 1, vcc_lo
	v_cmp_gt_i32_e32 vcc_lo, 31, v19
	s_delay_alu instid0(VALU_DEP_2)
	v_lshl_or_b32 v11, v11, 9, 0x7c00
	s_wait_alu 0xfffd
	v_cndmask_b32_e32 v20, 0x7c00, v3, vcc_lo
	v_mul_f64_e32 v[3:4], s[12:13], v[6:7]
	v_add_co_u32 v6, vcc_lo, v0, s10
	s_wait_alu 0xfffd
	v_add_co_ci_u32_e32 v7, vcc_lo, s11, v1, vcc_lo
	v_cmp_gt_i32_e32 vcc_lo, 1, v17
	s_wait_alu 0xfffd
	v_cndmask_b32_e32 v16, v18, v16, vcc_lo
	v_cmp_ne_u32_e32 vcc_lo, 0, v21
	v_lshrrev_b32_e32 v21, 8, v5
	v_lshrrev_b32_e32 v5, 16, v5
	v_and_or_b32 v9, 0x1ff, v10, v9
	s_wait_alu 0xfffd
	v_cndmask_b32_e64 v18, 0, 1, vcc_lo
	v_cmp_eq_u32_e32 vcc_lo, 0x40f, v19
	v_and_b32_e32 v19, 7, v16
	v_lshrrev_b32_e32 v16, 2, v16
	s_delay_alu instid0(VALU_DEP_4)
	v_and_or_b32 v18, 0xffe, v21, v18
	s_wait_alu 0xfffd
	v_cndmask_b32_e32 v11, v20, v11, vcc_lo
	v_sub_nc_u32_e32 v20, 0x3f1, v23
	v_cmp_lt_i32_e32 vcc_lo, 5, v19
	v_cmp_eq_u32_e64 s0, 3, v19
	v_bfe_u32 v21, v10, 20, 11
	v_and_or_b32 v11, 0x8000, v12, v11
	v_or_b32_e32 v12, 0x1000, v18
	v_med3_i32 v15, v20, 0, 13
	s_or_b32 vcc_lo, s0, vcc_lo
	v_lshrrev_b32_e32 v20, 8, v10
	s_wait_alu 0xfffe
	v_add_co_ci_u32_e32 v16, vcc_lo, 0, v16, vcc_lo
	v_lshrrev_b32_e32 v19, v15, v12
	v_cmp_ne_u32_e32 vcc_lo, 0, v9
	v_lshrrev_b32_e32 v10, 16, v10
	v_lshl_or_b32 v13, v11, 16, v13
	v_and_or_b32 v3, 0x1ff, v4, v3
	v_lshlrev_b32_e32 v15, v15, v19
	s_wait_alu 0xfffd
	v_cndmask_b32_e64 v9, 0, 1, vcc_lo
	v_cmp_ne_u32_e32 vcc_lo, 0, v22
	v_lshrrev_b32_e32 v24, 8, v4
	v_bfe_u32 v25, v4, 20, 11
	v_lshrrev_b32_e32 v11, 16, v4
	v_and_or_b32 v9, 0xffe, v20, v9
	s_wait_alu 0xfffd
	v_cndmask_b32_e64 v22, 0, 1, vcc_lo
	v_cmp_ne_u32_e32 vcc_lo, v15, v12
	v_sub_nc_u32_e32 v20, 0x3f1, v21
	v_add_nc_u32_e32 v15, 0xfffffc10, v23
	v_or_b32_e32 v23, 0x1000, v9
	s_wait_alu 0xfffd
	v_cndmask_b32_e64 v12, 0, 1, vcc_lo
	v_cmp_gt_i32_e32 vcc_lo, 31, v17
	v_med3_i32 v20, v20, 0, 13
	s_delay_alu instid0(VALU_DEP_3)
	v_or_b32_e32 v12, v19, v12
	s_wait_alu 0xfffd
	v_cndmask_b32_e32 v16, 0x7c00, v16, vcc_lo
	v_cmp_ne_u32_e32 vcc_lo, 0, v3
	v_lshl_or_b32 v19, v15, 12, v18
	v_lshrrev_b32_e32 v26, v20, v23
	s_wait_alu 0xfffd
	v_cndmask_b32_e64 v3, 0, 1, vcc_lo
	v_cmp_gt_i32_e32 vcc_lo, 1, v15
	s_delay_alu instid0(VALU_DEP_3) | instskip(NEXT) | instid1(VALU_DEP_3)
	v_lshlrev_b32_e32 v20, v20, v26
	v_and_or_b32 v3, 0xffe, v24, v3
	v_sub_nc_u32_e32 v24, 0x3f1, v25
	s_wait_alu 0xfffd
	v_cndmask_b32_e32 v12, v19, v12, vcc_lo
	v_lshl_or_b32 v19, v22, 9, 0x7c00
	v_cmp_eq_u32_e32 vcc_lo, 0x40f, v17
	v_or_b32_e32 v22, 0x1000, v3
	v_med3_i32 v24, v24, 0, 13
	v_and_b32_e32 v27, 7, v12
	v_lshrrev_b32_e32 v12, 2, v12
	s_wait_alu 0xfffd
	v_cndmask_b32_e32 v16, v16, v19, vcc_lo
	v_cmp_ne_u32_e32 vcc_lo, v20, v23
	v_add_nc_u32_e32 v19, 0xfffffc10, v21
	v_lshrrev_b32_e32 v20, v24, v22
	v_cmp_eq_u32_e64 s0, 3, v27
	v_and_or_b32 v8, 0x8000, v8, v16
	s_wait_alu 0xfffd
	v_cndmask_b32_e64 v17, 0, 1, vcc_lo
	v_lshl_or_b32 v21, v19, 12, v9
	v_lshlrev_b32_e32 v23, v24, v20
	v_cmp_gt_i32_e64 s1, 1, v19
	v_cmp_lt_i32_e32 vcc_lo, 5, v27
	v_or_b32_e32 v17, v26, v17
	v_and_b32_e32 v8, 0xffff, v8
	s_or_b32 vcc_lo, s0, vcc_lo
	s_delay_alu instid0(VALU_DEP_2)
	v_cndmask_b32_e64 v17, v21, v17, s1
	v_cmp_ne_u32_e64 s1, v23, v22
	v_add_nc_u32_e32 v22, 0xfffffc10, v25
	s_wait_alu 0xfffe
	v_add_co_ci_u32_e32 v12, vcc_lo, 0, v12, vcc_lo
	v_and_b32_e32 v23, 7, v17
	s_wait_alu 0xf1ff
	v_cndmask_b32_e64 v21, 0, 1, s1
	v_cmp_ne_u32_e32 vcc_lo, 0, v18
	v_cmp_gt_i32_e64 s0, 1, v22
	v_lshrrev_b32_e32 v17, 2, v17
	v_cmp_gt_i32_e64 s1, 31, v15
	v_or_b32_e32 v20, v20, v21
	v_lshl_or_b32 v21, v22, 12, v3
	s_wait_alu 0xfffd
	v_cndmask_b32_e64 v18, 0, 1, vcc_lo
	v_cmp_lt_i32_e32 vcc_lo, 5, v23
	s_wait_alu 0xf1ff
	v_cndmask_b32_e64 v12, 0x7c00, v12, s1
	v_cmp_eq_u32_e64 s1, 0x40f, v15
	v_cndmask_b32_e64 v16, v21, v20, s0
	v_cmp_eq_u32_e64 s0, 3, v23
	v_lshl_or_b32 v18, v18, 9, 0x7c00
	s_delay_alu instid0(VALU_DEP_3) | instskip(NEXT) | instid1(VALU_DEP_3)
	v_and_b32_e32 v20, 7, v16
	s_or_b32 vcc_lo, s0, vcc_lo
	v_lshrrev_b32_e32 v15, 2, v16
	s_wait_alu 0xfffe
	v_add_co_ci_u32_e32 v17, vcc_lo, 0, v17, vcc_lo
	v_cmp_ne_u32_e32 vcc_lo, 0, v9
	v_cmp_eq_u32_e64 s0, 3, v20
	v_cndmask_b32_e64 v12, v12, v18, s1
	v_cmp_gt_i32_e64 s1, 31, v19
	s_wait_alu 0xfffd
	v_cndmask_b32_e64 v9, 0, 1, vcc_lo
	v_cmp_lt_i32_e32 vcc_lo, 5, v20
	v_and_or_b32 v5, 0x8000, v5, v12
	s_wait_alu 0xf1ff
	v_cndmask_b32_e64 v16, 0x7c00, v17, s1
	v_lshl_or_b32 v9, v9, 9, 0x7c00
	s_or_b32 vcc_lo, s0, vcc_lo
	v_lshl_or_b32 v5, v5, 16, v8
	s_wait_alu 0xfffe
	v_add_co_ci_u32_e32 v15, vcc_lo, 0, v15, vcc_lo
	v_cmp_ne_u32_e32 vcc_lo, 0, v3
	s_wait_alu 0xfffd
	v_cndmask_b32_e64 v3, 0, 1, vcc_lo
	v_cmp_eq_u32_e32 vcc_lo, 0x40f, v19
	s_delay_alu instid0(VALU_DEP_2) | instskip(SKIP_3) | instid1(VALU_DEP_2)
	v_lshl_or_b32 v3, v3, 9, 0x7c00
	s_wait_alu 0xfffd
	v_cndmask_b32_e32 v9, v16, v9, vcc_lo
	v_cmp_gt_i32_e32 vcc_lo, 31, v22
	v_and_or_b32 v9, 0x8000, v10, v9
	s_wait_alu 0xfffd
	v_cndmask_b32_e32 v15, 0x7c00, v15, vcc_lo
	v_cmp_eq_u32_e32 vcc_lo, 0x40f, v22
	s_wait_alu 0xfffd
	s_delay_alu instid0(VALU_DEP_2) | instskip(SKIP_3) | instid1(VALU_DEP_3)
	v_cndmask_b32_e32 v10, v15, v3, vcc_lo
	v_add_co_u32 v3, vcc_lo, v6, s10
	s_wait_alu 0xfffd
	v_add_co_ci_u32_e32 v4, vcc_lo, s11, v7, vcc_lo
	v_and_or_b32 v10, 0x8000, v11, v10
	v_and_b32_e32 v11, 0xffff, v9
	v_add_co_u32 v8, vcc_lo, v3, s10
	s_wait_alu 0xfffd
	v_add_co_ci_u32_e32 v9, vcc_lo, s11, v4, vcc_lo
	s_delay_alu instid0(VALU_DEP_3) | instskip(NEXT) | instid1(VALU_DEP_3)
	v_lshl_or_b32 v12, v10, 16, v11
	v_add_co_u32 v10, vcc_lo, v8, s10
	s_wait_alu 0xfffd
	s_delay_alu instid0(VALU_DEP_3)
	v_add_co_ci_u32_e32 v11, vcc_lo, s11, v9, vcc_lo
	global_store_b32 v[0:1], v2, off
	global_store_b32 v[6:7], v14, off
	;; [unrolled: 1-line block ×5, first 2 shown]
.LBB0_2:
	s_nop 0
	s_sendmsg sendmsg(MSG_DEALLOC_VGPRS)
	s_endpgm
	.section	.rodata,"a",@progbits
	.p2align	6, 0x0
	.amdhsa_kernel bluestein_single_back_len3375_dim1_half_op_CI_CI
		.amdhsa_group_segment_fixed_size 13500
		.amdhsa_private_segment_fixed_size 0
		.amdhsa_kernarg_size 104
		.amdhsa_user_sgpr_count 2
		.amdhsa_user_sgpr_dispatch_ptr 0
		.amdhsa_user_sgpr_queue_ptr 0
		.amdhsa_user_sgpr_kernarg_segment_ptr 1
		.amdhsa_user_sgpr_dispatch_id 0
		.amdhsa_user_sgpr_private_segment_size 0
		.amdhsa_wavefront_size32 1
		.amdhsa_uses_dynamic_stack 0
		.amdhsa_enable_private_segment 0
		.amdhsa_system_sgpr_workgroup_id_x 1
		.amdhsa_system_sgpr_workgroup_id_y 0
		.amdhsa_system_sgpr_workgroup_id_z 0
		.amdhsa_system_sgpr_workgroup_info 0
		.amdhsa_system_vgpr_workitem_id 0
		.amdhsa_next_free_vgpr 211
		.amdhsa_next_free_sgpr 20
		.amdhsa_reserve_vcc 1
		.amdhsa_float_round_mode_32 0
		.amdhsa_float_round_mode_16_64 0
		.amdhsa_float_denorm_mode_32 3
		.amdhsa_float_denorm_mode_16_64 3
		.amdhsa_fp16_overflow 0
		.amdhsa_workgroup_processor_mode 1
		.amdhsa_memory_ordered 1
		.amdhsa_forward_progress 0
		.amdhsa_round_robin_scheduling 0
		.amdhsa_exception_fp_ieee_invalid_op 0
		.amdhsa_exception_fp_denorm_src 0
		.amdhsa_exception_fp_ieee_div_zero 0
		.amdhsa_exception_fp_ieee_overflow 0
		.amdhsa_exception_fp_ieee_underflow 0
		.amdhsa_exception_fp_ieee_inexact 0
		.amdhsa_exception_int_div_zero 0
	.end_amdhsa_kernel
	.text
.Lfunc_end0:
	.size	bluestein_single_back_len3375_dim1_half_op_CI_CI, .Lfunc_end0-bluestein_single_back_len3375_dim1_half_op_CI_CI
                                        ; -- End function
	.section	.AMDGPU.csdata,"",@progbits
; Kernel info:
; codeLenInByte = 32536
; NumSgprs: 22
; NumVgprs: 211
; ScratchSize: 0
; MemoryBound: 0
; FloatMode: 240
; IeeeMode: 1
; LDSByteSize: 13500 bytes/workgroup (compile time only)
; SGPRBlocks: 2
; VGPRBlocks: 26
; NumSGPRsForWavesPerEU: 22
; NumVGPRsForWavesPerEU: 211
; Occupancy: 7
; WaveLimiterHint : 1
; COMPUTE_PGM_RSRC2:SCRATCH_EN: 0
; COMPUTE_PGM_RSRC2:USER_SGPR: 2
; COMPUTE_PGM_RSRC2:TRAP_HANDLER: 0
; COMPUTE_PGM_RSRC2:TGID_X_EN: 1
; COMPUTE_PGM_RSRC2:TGID_Y_EN: 0
; COMPUTE_PGM_RSRC2:TGID_Z_EN: 0
; COMPUTE_PGM_RSRC2:TIDIG_COMP_CNT: 0
	.text
	.p2alignl 7, 3214868480
	.fill 96, 4, 3214868480
	.type	__hip_cuid_8ee2d5a5825f2850,@object ; @__hip_cuid_8ee2d5a5825f2850
	.section	.bss,"aw",@nobits
	.globl	__hip_cuid_8ee2d5a5825f2850
__hip_cuid_8ee2d5a5825f2850:
	.byte	0                               ; 0x0
	.size	__hip_cuid_8ee2d5a5825f2850, 1

	.ident	"AMD clang version 19.0.0git (https://github.com/RadeonOpenCompute/llvm-project roc-6.4.0 25133 c7fe45cf4b819c5991fe208aaa96edf142730f1d)"
	.section	".note.GNU-stack","",@progbits
	.addrsig
	.addrsig_sym __hip_cuid_8ee2d5a5825f2850
	.amdgpu_metadata
---
amdhsa.kernels:
  - .args:
      - .actual_access:  read_only
        .address_space:  global
        .offset:         0
        .size:           8
        .value_kind:     global_buffer
      - .actual_access:  read_only
        .address_space:  global
        .offset:         8
        .size:           8
        .value_kind:     global_buffer
      - .actual_access:  read_only
        .address_space:  global
        .offset:         16
        .size:           8
        .value_kind:     global_buffer
      - .actual_access:  read_only
        .address_space:  global
        .offset:         24
        .size:           8
        .value_kind:     global_buffer
      - .actual_access:  read_only
        .address_space:  global
        .offset:         32
        .size:           8
        .value_kind:     global_buffer
      - .offset:         40
        .size:           8
        .value_kind:     by_value
      - .address_space:  global
        .offset:         48
        .size:           8
        .value_kind:     global_buffer
      - .address_space:  global
        .offset:         56
        .size:           8
        .value_kind:     global_buffer
      - .address_space:  global
        .offset:         64
        .size:           8
        .value_kind:     global_buffer
      - .address_space:  global
        .offset:         72
        .size:           8
        .value_kind:     global_buffer
      - .offset:         80
        .size:           4
        .value_kind:     by_value
      - .address_space:  global
        .offset:         88
        .size:           8
        .value_kind:     global_buffer
      - .address_space:  global
        .offset:         96
        .size:           8
        .value_kind:     global_buffer
    .group_segment_fixed_size: 13500
    .kernarg_segment_align: 8
    .kernarg_segment_size: 104
    .language:       OpenCL C
    .language_version:
      - 2
      - 0
    .max_flat_workgroup_size: 225
    .name:           bluestein_single_back_len3375_dim1_half_op_CI_CI
    .private_segment_fixed_size: 0
    .sgpr_count:     22
    .sgpr_spill_count: 0
    .symbol:         bluestein_single_back_len3375_dim1_half_op_CI_CI.kd
    .uniform_work_group_size: 1
    .uses_dynamic_stack: false
    .vgpr_count:     211
    .vgpr_spill_count: 0
    .wavefront_size: 32
    .workgroup_processor_mode: 1
amdhsa.target:   amdgcn-amd-amdhsa--gfx1201
amdhsa.version:
  - 1
  - 2
...

	.end_amdgpu_metadata
